;; amdgpu-corpus repo=ROCm/rocFFT kind=compiled arch=gfx1201 opt=O3
	.text
	.amdgcn_target "amdgcn-amd-amdhsa--gfx1201"
	.amdhsa_code_object_version 6
	.protected	bluestein_single_fwd_len1920_dim1_half_op_CI_CI ; -- Begin function bluestein_single_fwd_len1920_dim1_half_op_CI_CI
	.globl	bluestein_single_fwd_len1920_dim1_half_op_CI_CI
	.p2align	8
	.type	bluestein_single_fwd_len1920_dim1_half_op_CI_CI,@function
bluestein_single_fwd_len1920_dim1_half_op_CI_CI: ; @bluestein_single_fwd_len1920_dim1_half_op_CI_CI
; %bb.0:
	s_load_b128 s[12:15], s[0:1], 0x28
	v_mul_u32_u24_e32 v1, 0x223, v0
	v_mov_b32_e32 v30, 0
	s_mov_b32 s2, exec_lo
	s_delay_alu instid0(VALU_DEP_2) | instskip(NEXT) | instid1(VALU_DEP_1)
	v_lshrrev_b32_e32 v2, 16, v1
	v_lshl_add_u32 v29, ttmp9, 1, v2
	s_wait_kmcnt 0x0
	s_delay_alu instid0(VALU_DEP_1)
	v_cmpx_gt_u64_e64 s[12:13], v[29:30]
	s_cbranch_execz .LBB0_23
; %bb.1:
	s_clause 0x1
	s_load_b128 s[4:7], s[0:1], 0x18
	s_load_b64 s[12:13], s[0:1], 0x0
	v_mul_lo_u16 v1, 0x78, v2
	s_delay_alu instid0(VALU_DEP_1)
	v_sub_nc_u16 v20, v0, v1
	s_wait_kmcnt 0x0
	s_load_b128 s[8:11], s[4:5], 0x0
	s_wait_kmcnt 0x0
	v_mad_co_u64_u32 v[0:1], null, s10, v29, 0
	s_mul_u64 s[2:3], s[8:9], 0xc0
	s_mul_u64 s[4:5], s[8:9], 0x600
	s_lshl_b64 s[16:17], s[2:3], 2
	s_delay_alu instid0(VALU_DEP_1) | instskip(SKIP_3) | instid1(VALU_DEP_3)
	v_mad_co_u64_u32 v[13:14], null, s11, v29, v[1:2]
	v_and_b32_e32 v62, 0xffff, v20
	v_and_b32_e32 v2, 1, v2
	s_load_b64 s[10:11], s[0:1], 0x38
	v_mov_b32_e32 v1, v13
	s_delay_alu instid0(VALU_DEP_3)
	v_or_b32_e32 v59, 0x180, v62
	v_or_b32_e32 v54, 0x300, v62
	;; [unrolled: 1-line block ×4, first 2 shown]
	v_mad_co_u64_u32 v[3:4], null, s8, v62, 0
	v_mad_co_u64_u32 v[5:6], null, s8, v59, 0
	;; [unrolled: 1-line block ×5, first 2 shown]
	s_delay_alu instid0(VALU_DEP_4) | instskip(NEXT) | instid1(VALU_DEP_4)
	v_mad_co_u64_u32 v[14:15], null, s9, v62, v[4:5]
	v_mad_co_u64_u32 v[15:16], null, s9, v59, v[6:7]
	s_delay_alu instid0(VALU_DEP_4) | instskip(NEXT) | instid1(VALU_DEP_4)
	v_mad_co_u64_u32 v[16:17], null, s9, v54, v[8:9]
	v_mad_co_u64_u32 v[17:18], null, s9, v48, v[12:13]
	s_delay_alu instid0(VALU_DEP_4)
	v_dual_mov_b32 v4, v14 :: v_dual_lshlrev_b32 v21, 2, v62
	v_lshlrev_b64_e32 v[0:1], 2, v[0:1]
	v_mov_b32_e32 v6, v15
	s_clause 0x9
	global_load_b32 v70, v21, s[12:13]
	global_load_b32 v69, v21, s[12:13] offset:768
	global_load_b32 v67, v21, s[12:13] offset:1536
	;; [unrolled: 1-line block ×9, first 2 shown]
	v_mov_b32_e32 v12, v17
	v_lshlrev_b64_e32 v[3:4], 2, v[3:4]
	v_add_co_u32 v13, vcc_lo, s14, v0
	v_add_co_ci_u32_e32 v14, vcc_lo, s15, v1, vcc_lo
	s_delay_alu instid0(VALU_DEP_4) | instskip(NEXT) | instid1(VALU_DEP_3)
	v_lshlrev_b64_e32 v[0:1], 2, v[11:12]
	v_add_co_u32 v3, vcc_lo, v13, v3
	s_wait_alu 0xfffd
	s_delay_alu instid0(VALU_DEP_3) | instskip(SKIP_1) | instid1(VALU_DEP_4)
	v_add_co_ci_u32_e32 v4, vcc_lo, v14, v4, vcc_lo
	v_lshlrev_b64_e32 v[5:6], 2, v[5:6]
	v_add_co_u32 v0, vcc_lo, v13, v0
	s_wait_alu 0xfffd
	v_add_co_ci_u32_e32 v1, vcc_lo, v14, v1, vcc_lo
	v_mad_co_u64_u32 v[18:19], null, s9, v51, v[10:11]
	s_clause 0x1
	global_load_b32 v11, v[3:4], off
	global_load_b32 v12, v[0:1], off
	v_add_co_u32 v3, vcc_lo, v3, s16
	v_mov_b32_e32 v8, v16
	s_wait_alu 0xfffd
	v_add_co_ci_u32_e32 v4, vcc_lo, s17, v4, vcc_lo
	v_add_co_u32 v5, vcc_lo, v13, v5
	s_wait_alu 0xfffd
	v_add_co_ci_u32_e32 v6, vcc_lo, v14, v6, vcc_lo
	v_lshlrev_b64_e32 v[0:1], 2, v[7:8]
	s_clause 0x1
	global_load_b32 v7, v[3:4], off
	global_load_b32 v8, v[5:6], off
	v_add_co_u32 v3, vcc_lo, v3, s4
	v_mov_b32_e32 v10, v18
	s_wait_alu 0xfffd
	v_add_co_ci_u32_e32 v4, vcc_lo, s5, v4, vcc_lo
	v_add_co_u32 v0, vcc_lo, v13, v0
	s_wait_alu 0xfffd
	v_add_co_ci_u32_e32 v1, vcc_lo, v14, v1, vcc_lo
	v_lshlrev_b64_e32 v[5:6], 2, v[9:10]
	s_clause 0x1
	global_load_b32 v9, v[3:4], off
	global_load_b32 v10, v[0:1], off
	v_add_co_u32 v0, vcc_lo, v3, s4
	s_wait_alu 0xfffd
	v_add_co_ci_u32_e32 v1, vcc_lo, s5, v4, vcc_lo
	v_add_co_u32 v3, vcc_lo, v13, v5
	s_wait_alu 0xfffd
	v_add_co_ci_u32_e32 v4, vcc_lo, v14, v6, vcc_lo
	s_clause 0x1
	global_load_b32 v5, v[0:1], off
	global_load_b32 v6, v[3:4], off
	v_add_co_u32 v3, vcc_lo, v0, s4
	s_wait_alu 0xfffd
	v_add_co_ci_u32_e32 v4, vcc_lo, s5, v1, vcc_lo
	v_add_co_u32 v27, s2, s12, v21
	s_delay_alu instid0(VALU_DEP_3) | instskip(SKIP_1) | instid1(VALU_DEP_3)
	v_add_co_u32 v0, vcc_lo, v3, s4
	s_wait_alu 0xfffd
	v_add_co_ci_u32_e32 v1, vcc_lo, s5, v4, vcc_lo
	global_load_b32 v3, v[3:4], off
	global_load_b32 v4, v[0:1], off
	v_cmp_eq_u32_e32 vcc_lo, 1, v2
	s_load_b128 s[4:7], s[6:7], 0x0
	v_add_co_ci_u32_e64 v28, null, s13, 0, s2
	v_cndmask_b32_e64 v75, 0, 0x780, vcc_lo
	v_cmp_gt_u16_e32 vcc_lo, 0x48, v20
	s_delay_alu instid0(VALU_DEP_2) | instskip(SKIP_1) | instid1(VALU_DEP_2)
	v_or_b32_e32 v2, v75, v62
	v_lshl_add_u32 v49, v75, 2, v21
	v_lshlrev_b32_e32 v74, 2, v2
	s_wait_loadcnt 0x13
	v_lshrrev_b32_e32 v73, 16, v70
	s_wait_loadcnt 0x12
	v_lshrrev_b32_e32 v72, 16, v69
	;; [unrolled: 2-line block ×11, first 2 shown]
	v_mul_f16_e32 v13, v73, v11
	s_wait_loadcnt 0x8
	v_lshrrev_b32_e32 v14, 16, v12
	v_mul_f16_e32 v15, v56, v12
	v_mul_f16_e32 v16, v73, v2
	v_fma_f16 v2, v70, v2, -v13
	s_delay_alu instid0(VALU_DEP_4) | instskip(NEXT) | instid1(VALU_DEP_4)
	v_mul_f16_e32 v21, v56, v14
	v_fma_f16 v14, v52, v14, -v15
	s_delay_alu instid0(VALU_DEP_4)
	v_fmac_f16_e32 v16, v70, v11
	s_wait_loadcnt 0x7
	v_lshrrev_b32_e32 v13, 16, v7
	v_mul_f16_e32 v17, v72, v7
	s_wait_loadcnt 0x6
	v_lshrrev_b32_e32 v18, 16, v8
	v_mul_f16_e32 v19, v71, v8
	v_pack_b32_f16 v2, v16, v2
	v_mul_f16_e32 v11, v72, v13
	v_fma_f16 v13, v69, v13, -v17
	v_mul_f16_e32 v15, v71, v18
	v_fma_f16 v17, v67, v18, -v19
	v_fmac_f16_e32 v21, v52, v12
	v_fmac_f16_e32 v11, v69, v7
	ds_store_b32 v74, v2
	s_wait_loadcnt 0x5
	v_lshrrev_b32_e32 v18, 16, v9
	v_mul_f16_e32 v19, v68, v9
	s_wait_loadcnt 0x4
	v_lshrrev_b32_e32 v22, 16, v10
	v_mul_f16_e32 v23, v66, v10
	v_fmac_f16_e32 v15, v67, v8
	v_mul_f16_e32 v7, v68, v18
	v_fma_f16 v8, v65, v18, -v19
	v_mul_f16_e32 v12, v66, v22
	v_fma_f16 v16, v63, v22, -v23
	v_pack_b32_f16 v2, v11, v13
	v_pack_b32_f16 v11, v15, v17
	s_wait_loadcnt 0x3
	v_lshrrev_b32_e32 v18, 16, v5
	s_wait_loadcnt 0x2
	v_lshrrev_b32_e32 v22, 16, v6
	v_fmac_f16_e32 v7, v65, v9
	v_mul_f16_e32 v19, v64, v5
	ds_store_2addr_stride64_b32 v49, v2, v11 offset0:3 offset1:6
	v_mul_f16_e32 v9, v64, v18
	v_mul_f16_e32 v13, v61, v22
	v_pack_b32_f16 v2, v7, v8
	v_mul_f16_e32 v23, v61, v6
	v_fmac_f16_e32 v12, v63, v10
	v_fma_f16 v10, v60, v18, -v19
	v_fmac_f16_e32 v9, v60, v5
	v_fmac_f16_e32 v13, v57, v6
	s_wait_loadcnt 0x1
	v_lshrrev_b32_e32 v17, 16, v3
	s_wait_loadcnt 0x0
	v_lshrrev_b32_e32 v7, 16, v4
	v_mul_f16_e32 v18, v58, v3
	v_mul_f16_e32 v11, v53, v4
	v_fma_f16 v15, v57, v22, -v23
	v_mul_f16_e32 v5, v58, v17
	v_mul_f16_e32 v6, v53, v7
	v_pack_b32_f16 v8, v12, v16
	v_fma_f16 v12, v55, v17, -v18
	s_delay_alu instid0(VALU_DEP_4) | instskip(NEXT) | instid1(VALU_DEP_4)
	v_fmac_f16_e32 v5, v55, v3
	v_fmac_f16_e32 v6, v50, v4
	v_fma_f16 v4, v50, v7, -v11
	v_pack_b32_f16 v3, v9, v10
	v_pack_b32_f16 v7, v13, v15
	v_pack_b32_f16 v5, v5, v12
	v_pack_b32_f16 v9, v21, v14
	v_pack_b32_f16 v4, v6, v4
	ds_store_2addr_stride64_b32 v49, v2, v8 offset0:9 offset1:12
	ds_store_2addr_stride64_b32 v49, v3, v7 offset0:15 offset1:18
	ds_store_2addr_stride64_b32 v49, v5, v9 offset0:21 offset1:24
	ds_store_b32 v49, v4 offset:6912
	s_and_saveexec_b32 s3, vcc_lo
	s_cbranch_execz .LBB0_3
; %bb.2:
	v_mad_co_u64_u32 v[0:1], null, 0xffffe6e0, s8, v[0:1]
	s_mul_i32 s2, s9, 0xffffe6e0
	s_wait_alu 0xfffe
	s_sub_co_i32 s2, s2, s8
	s_wait_alu 0xfffe
	s_delay_alu instid0(VALU_DEP_1)
	v_add_nc_u32_e32 v1, s2, v1
	global_load_b32 v6, v[0:1], off
	v_add_co_u32 v0, s2, v0, s16
	s_wait_alu 0xf1ff
	v_add_co_ci_u32_e64 v1, s2, s17, v1, s2
	s_clause 0x5
	global_load_b32 v7, v[27:28], off offset:480
	global_load_b32 v8, v[27:28], off offset:1248
	;; [unrolled: 1-line block ×6, first 2 shown]
	v_add_co_u32 v2, s2, v0, s16
	s_wait_alu 0xf1ff
	v_add_co_ci_u32_e64 v3, s2, s17, v1, s2
	s_clause 0x2
	global_load_b32 v13, v[27:28], off offset:5088
	global_load_b32 v14, v[27:28], off offset:5856
	;; [unrolled: 1-line block ×3, first 2 shown]
	global_load_b32 v16, v[0:1], off
	global_load_b32 v17, v[27:28], off offset:7392
	global_load_b32 v18, v[2:3], off
	v_add_co_u32 v0, s2, v2, s16
	s_wait_alu 0xf1ff
	v_add_co_ci_u32_e64 v1, s2, s17, v3, s2
	s_delay_alu instid0(VALU_DEP_2) | instskip(SKIP_1) | instid1(VALU_DEP_2)
	v_add_co_u32 v2, s2, v0, s16
	s_wait_alu 0xf1ff
	v_add_co_ci_u32_e64 v3, s2, s17, v1, s2
	global_load_b32 v19, v[0:1], off
	v_add_co_u32 v0, s2, v2, s16
	s_wait_alu 0xf1ff
	v_add_co_ci_u32_e64 v1, s2, s17, v3, s2
	global_load_b32 v20, v[2:3], off
	;; [unrolled: 4-line block ×4, first 2 shown]
	v_add_co_u32 v2, s2, v0, s16
	s_wait_alu 0xf1ff
	v_add_co_ci_u32_e64 v3, s2, s17, v1, s2
	s_delay_alu instid0(VALU_DEP_2) | instskip(SKIP_1) | instid1(VALU_DEP_2)
	v_add_co_u32 v4, s2, v2, s16
	s_wait_alu 0xf1ff
	v_add_co_ci_u32_e64 v5, s2, s17, v3, s2
	global_load_b32 v0, v[0:1], off
	global_load_b32 v1, v[2:3], off
	;; [unrolled: 1-line block ×3, first 2 shown]
	v_add_nc_u32_e32 v3, 0xe0, v49
	s_wait_loadcnt 0x12
	v_lshrrev_b32_e32 v4, 16, v7
	v_lshrrev_b32_e32 v30, 16, v6
	s_wait_loadcnt 0x11
	v_lshrrev_b32_e32 v5, 16, v8
	s_wait_loadcnt 0x10
	;; [unrolled: 2-line block ×3, first 2 shown]
	v_lshrrev_b32_e32 v24, 16, v10
	v_mul_f16_e32 v34, v4, v6
	v_mul_f16_e32 v4, v4, v30
	s_wait_loadcnt 0xe
	v_lshrrev_b32_e32 v25, 16, v11
	s_wait_loadcnt 0x9
	v_lshrrev_b32_e32 v35, 16, v16
	v_mul_f16_e32 v37, v5, v16
	v_fma_f16 v30, v7, v30, -v34
	v_fmac_f16_e32 v4, v7, v6
	s_wait_loadcnt 0x7
	v_lshrrev_b32_e32 v6, 16, v18
	v_mul_f16_e32 v5, v5, v35
	v_fma_f16 v7, v8, v35, -v37
	v_mul_f16_e32 v34, v23, v18
	v_lshrrev_b32_e32 v26, 16, v12
	v_lshrrev_b32_e32 v31, 16, v13
	v_fmac_f16_e32 v5, v8, v16
	v_mul_f16_e32 v8, v23, v6
	s_wait_loadcnt 0x6
	v_lshrrev_b32_e32 v16, 16, v19
	v_fma_f16 v6, v9, v6, -v34
	v_mul_f16_e32 v23, v24, v19
	v_pack_b32_f16 v5, v5, v7
	v_fmac_f16_e32 v8, v9, v18
	s_wait_loadcnt 0x5
	v_lshrrev_b32_e32 v9, 16, v20
	v_mul_f16_e32 v7, v24, v16
	v_mul_f16_e32 v18, v25, v20
	v_fma_f16 v16, v10, v16, -v23
	v_pack_b32_f16 v6, v8, v6
	v_mul_f16_e32 v8, v25, v9
	v_fmac_f16_e32 v7, v10, v19
	s_wait_loadcnt 0x4
	v_lshrrev_b32_e32 v10, 16, v21
	v_fma_f16 v9, v11, v9, -v18
	v_mul_f16_e32 v18, v26, v21
	v_fmac_f16_e32 v8, v11, v20
	s_wait_loadcnt 0x3
	v_lshrrev_b32_e32 v11, 16, v22
	v_pack_b32_f16 v7, v7, v16
	v_mul_f16_e32 v16, v26, v10
	v_lshrrev_b32_e32 v32, 16, v14
	v_mul_f16_e32 v19, v31, v22
	v_pack_b32_f16 v8, v8, v9
	v_mul_f16_e32 v9, v31, v11
	v_fma_f16 v10, v12, v10, -v18
	v_fmac_f16_e32 v16, v12, v21
	s_wait_loadcnt 0x2
	v_lshrrev_b32_e32 v12, 16, v0
	v_lshrrev_b32_e32 v33, 16, v15
	;; [unrolled: 1-line block ×3, first 2 shown]
	v_fma_f16 v11, v13, v11, -v19
	v_mul_f16_e32 v18, v32, v0
	v_fmac_f16_e32 v9, v13, v22
	s_wait_loadcnt 0x1
	v_lshrrev_b32_e32 v13, 16, v1
	s_wait_loadcnt 0x0
	v_lshrrev_b32_e32 v19, 16, v2
	v_mul_f16_e32 v20, v32, v12
	v_fma_f16 v12, v14, v12, -v18
	v_mul_f16_e32 v18, v33, v1
	v_mul_f16_e32 v21, v33, v13
	;; [unrolled: 1-line block ×4, first 2 shown]
	v_fmac_f16_e32 v20, v14, v0
	v_fma_f16 v0, v15, v13, -v18
	v_fmac_f16_e32 v21, v15, v1
	v_fmac_f16_e32 v22, v17, v2
	v_fma_f16 v1, v17, v19, -v23
	v_pack_b32_f16 v4, v4, v30
	v_pack_b32_f16 v2, v16, v10
	;; [unrolled: 1-line block ×6, first 2 shown]
	ds_store_2addr_stride64_b32 v3, v4, v5 offset0:1 offset1:4
	ds_store_2addr_stride64_b32 v3, v6, v7 offset0:7 offset1:10
	;; [unrolled: 1-line block ×5, first 2 shown]
.LBB0_3:
	s_wait_alu 0xfffe
	s_or_b32 exec_lo, exec_lo, s3
	global_wb scope:SCOPE_SE
	s_wait_dscnt 0x0
	s_wait_kmcnt 0x0
	s_barrier_signal -1
	s_barrier_wait -1
	global_inv scope:SCOPE_SE
	ds_load_2addr_stride64_b32 v[16:17], v49 offset0:3 offset1:6
	ds_load_2addr_stride64_b32 v[4:5], v49 offset0:9 offset1:12
	;; [unrolled: 1-line block ×4, first 2 shown]
	ds_load_b32 v18, v74
	ds_load_b32 v20, v49 offset:6912
                                        ; implicit-def: $vgpr6
                                        ; implicit-def: $vgpr8
                                        ; implicit-def: $vgpr10
                                        ; implicit-def: $vgpr12
                                        ; implicit-def: $vgpr14
	s_and_saveexec_b32 s2, vcc_lo
	s_cbranch_execz .LBB0_5
; %bb.4:
	v_add_nc_u32_e32 v6, 0xe0, v49
	ds_load_2addr_stride64_b32 v[14:15], v6 offset0:1 offset1:4
	ds_load_2addr_stride64_b32 v[12:13], v6 offset0:7 offset1:10
	;; [unrolled: 1-line block ×5, first 2 shown]
.LBB0_5:
	s_wait_alu 0xfffe
	s_or_b32 exec_lo, exec_lo, s2
	s_wait_dscnt 0x3
	v_add_f16_e32 v19, v5, v3
	v_lshrrev_b32_e32 v21, 16, v17
	s_wait_dscnt 0x2
	v_lshrrev_b32_e32 v22, 16, v1
	v_lshrrev_b32_e32 v23, 16, v5
	;; [unrolled: 1-line block ×3, first 2 shown]
	s_wait_dscnt 0x1
	v_fma_f16 v19, -0.5, v19, v18
	v_sub_f16_e32 v30, v1, v3
	v_sub_f16_e32 v25, v21, v22
	;; [unrolled: 1-line block ×4, first 2 shown]
	v_add_f16_e32 v34, v17, v1
	s_load_b64 s[2:3], s[0:1], 0x8
	v_fmamk_f16 v32, v25, 0x3b9c, v19
	v_fmac_f16_e32 v19, 0xbb9c, v25
	v_add_co_u32 v26, s0, 0x78, v62
	s_wait_alu 0xf1ff
	v_add_co_ci_u32_e64 v35, null, 0, 0, s0
	v_fmac_f16_e32 v32, 0x38b4, v31
	v_add_f16_e32 v30, v33, v30
	v_fma_f16 v33, -0.5, v34, v18
	v_fmac_f16_e32 v19, 0xb8b4, v31
	v_add_f16_e32 v34, v23, v24
	v_lshrrev_b32_e32 v35, 16, v18
	v_pk_add_f16 v39, v18, v17
	v_fmac_f16_e32 v32, 0x34f2, v30
	v_fmac_f16_e32 v19, 0x34f2, v30
	v_sub_f16_e32 v36, v3, v1
	v_fma_f16 v30, -0.5, v34, v35
	v_sub_f16_e32 v34, v17, v1
	v_sub_f16_e32 v17, v5, v17
	v_fmamk_f16 v18, v31, 0xbb9c, v33
	v_fmac_f16_e32 v33, 0x3b9c, v31
	v_sub_f16_e32 v37, v5, v3
	v_fmamk_f16 v31, v34, 0xbb9c, v30
	v_add_f16_e32 v17, v17, v36
	v_add_f16_e32 v36, v21, v22
	v_fmac_f16_e32 v18, 0x38b4, v25
	v_fmac_f16_e32 v33, 0xb8b4, v25
	v_sub_f16_e32 v38, v21, v23
	v_sub_f16_e32 v40, v22, v24
	v_fmac_f16_e32 v35, -0.5, v36
	v_fmac_f16_e32 v30, 0x3b9c, v34
	v_fmac_f16_e32 v18, 0x34f2, v17
	;; [unrolled: 1-line block ×3, first 2 shown]
	v_add_f16_e32 v36, v2, v0
	v_fmamk_f16 v17, v37, 0x3b9c, v35
	v_sub_f16_e32 v21, v23, v21
	v_sub_f16_e32 v22, v24, v22
	v_fmac_f16_e32 v35, 0xbb9c, v37
	v_fmac_f16_e32 v31, 0xb8b4, v37
	v_add_f16_e32 v25, v38, v40
	v_fmac_f16_e32 v30, 0x38b4, v37
	v_lshrrev_b32_e32 v38, 16, v4
	s_wait_dscnt 0x0
	v_lshrrev_b32_e32 v40, 16, v20
	v_fmac_f16_e32 v17, 0xb8b4, v34
	v_fma_f16 v23, -0.5, v36, v16
	v_lshrrev_b32_e32 v36, 16, v2
	v_lshrrev_b32_e32 v41, 16, v0
	v_add_f16_e32 v37, v4, v20
	v_sub_f16_e32 v43, v20, v0
	v_sub_f16_e32 v44, v4, v2
	v_add_f16_e32 v21, v21, v22
	v_fmac_f16_e32 v35, 0x38b4, v34
	v_fmac_f16_e32 v31, 0x34f2, v25
	;; [unrolled: 1-line block ×3, first 2 shown]
	v_sub_f16_e32 v25, v38, v40
	v_sub_f16_e32 v42, v36, v41
	v_fma_f16 v22, -0.5, v37, v16
	v_add_f16_e32 v34, v44, v43
	v_fmac_f16_e32 v17, 0x34f2, v21
	v_fmac_f16_e32 v35, 0x34f2, v21
	v_pk_add_f16 v43, v16, v4
	v_add_f16_e32 v21, v36, v41
	v_lshrrev_b32_e32 v16, 16, v16
	v_add_f16_e32 v46, v38, v40
	v_fmamk_f16 v24, v25, 0x3b9c, v23
	v_fmamk_f16 v37, v42, 0xbb9c, v22
	v_sub_f16_e32 v44, v0, v20
	v_sub_f16_e32 v45, v2, v4
	v_fmac_f16_e32 v22, 0x3b9c, v42
	v_fma_f16 v21, -0.5, v21, v16
	v_sub_f16_e32 v4, v4, v20
	v_sub_f16_e32 v47, v2, v0
	v_fmac_f16_e32 v16, -0.5, v46
	v_fmac_f16_e32 v24, 0x38b4, v42
	v_fmac_f16_e32 v23, 0xbb9c, v25
	v_fmac_f16_e32 v37, 0x38b4, v25
	v_add_f16_e32 v44, v45, v44
	v_fmac_f16_e32 v22, 0xb8b4, v25
	v_fmamk_f16 v25, v4, 0xbb9c, v21
	v_sub_f16_e32 v45, v38, v36
	v_fmamk_f16 v46, v47, 0x3b9c, v16
	v_sub_f16_e32 v36, v36, v38
	v_sub_f16_e32 v38, v41, v40
	;; [unrolled: 1-line block ×3, first 2 shown]
	v_fmac_f16_e32 v24, 0x34f2, v34
	v_fmac_f16_e32 v25, 0xb8b4, v47
	;; [unrolled: 1-line block ×4, first 2 shown]
	v_add_f16_e32 v36, v36, v38
	v_add_f16_e32 v38, v45, v40
	v_fmac_f16_e32 v21, 0x3b9c, v4
	v_fmac_f16_e32 v23, 0xb8b4, v42
	;; [unrolled: 1-line block ×6, first 2 shown]
	v_mul_f16_e32 v4, 0x3a79, v24
	v_fmac_f16_e32 v21, 0x38b4, v47
	v_fmac_f16_e32 v23, 0x34f2, v34
	;; [unrolled: 1-line block ×4, first 2 shown]
	v_mul_f16_e32 v36, 0x3b9c, v46
	v_mul_f16_e32 v40, 0x34f2, v22
	v_fmac_f16_e32 v4, 0x38b4, v25
	v_fmac_f16_e32 v21, 0x34f2, v38
	v_mul_f16_e32 v38, 0x3a79, v23
	v_fmac_f16_e32 v36, 0x34f2, v37
	v_fma_f16 v40, v16, 0x3b9c, -v40
	v_add_f16_e32 v34, v32, v4
	v_mul_f16_e32 v24, 0xb8b4, v24
	v_mul_f16_e32 v37, 0xbb9c, v37
	;; [unrolled: 1-line block ×4, first 2 shown]
	v_fma_f16 v21, v21, 0x38b4, -v38
	v_sub_f16_e32 v32, v32, v4
	v_add_f16_e32 v4, v8, v10
	v_lshrrev_b32_e32 v38, 16, v6
	v_lshrrev_b32_e32 v47, 16, v12
	v_add_f16_e32 v41, v18, v36
	v_fmac_f16_e32 v24, 0x3a79, v25
	v_fmac_f16_e32 v37, 0x34f2, v46
	v_fma_f16 v16, v22, 0xbb9c, -v16
	v_add_f16_e32 v25, v19, v21
	v_sub_f16_e32 v76, v18, v36
	v_sub_f16_e32 v77, v19, v21
	v_fma_f16 v21, -0.5, v4, v14
	v_sub_f16_e32 v18, v47, v38
	v_lshrrev_b32_e32 v19, 16, v8
	v_lshrrev_b32_e32 v36, 16, v10
	v_add_f16_e32 v42, v33, v40
	v_fma_f16 v22, v23, 0xb8b4, -v44
	v_add_f16_e32 v23, v31, v24
	v_add_f16_e32 v44, v17, v37
	;; [unrolled: 1-line block ×3, first 2 shown]
	v_sub_f16_e32 v33, v33, v40
	v_sub_f16_e32 v24, v31, v24
	;; [unrolled: 1-line block ×4, first 2 shown]
	v_fmamk_f16 v4, v18, 0x3b9c, v21
	v_sub_f16_e32 v16, v36, v19
	v_sub_f16_e32 v31, v12, v10
	;; [unrolled: 1-line block ×3, first 2 shown]
	v_add_f16_e32 v40, v6, v12
	v_fmac_f16_e32 v21, 0xbb9c, v18
	v_add_f16_e32 v46, v30, v22
	v_sub_f16_e32 v79, v30, v22
	v_fmac_f16_e32 v4, 0x38b4, v16
	v_add_f16_e32 v22, v37, v31
	v_fma_f16 v30, -0.5, v40, v14
	v_fmac_f16_e32 v21, 0xb8b4, v16
	v_add_f16_e32 v31, v19, v36
	v_lshrrev_b32_e32 v78, 16, v14
	v_pk_add_f16 v37, v12, v14
	v_fmamk_f16 v40, v16, 0xbb9c, v30
	v_fmac_f16_e32 v4, 0x34f2, v22
	v_fmac_f16_e32 v21, 0x34f2, v22
	v_fma_f16 v22, -0.5, v31, v78
	v_sub_f16_e32 v31, v12, v6
	v_sub_f16_e32 v12, v10, v12
	;; [unrolled: 1-line block ×3, first 2 shown]
	v_fmac_f16_e32 v30, 0x3b9c, v16
	v_fmac_f16_e32 v40, 0x38b4, v18
	v_fmamk_f16 v14, v31, 0xbb9c, v22
	v_sub_f16_e32 v16, v10, v8
	v_sub_f16_e32 v81, v47, v36
	;; [unrolled: 1-line block ×3, first 2 shown]
	v_add_f16_e32 v12, v80, v12
	v_add_f16_e32 v80, v38, v47
	v_fmac_f16_e32 v30, 0xb8b4, v18
	v_fmac_f16_e32 v22, 0x3b9c, v31
	;; [unrolled: 1-line block ×3, first 2 shown]
	v_add_f16_e32 v18, v82, v81
	v_fmac_f16_e32 v78, -0.5, v80
	v_fmac_f16_e32 v40, 0x34f2, v12
	v_fmac_f16_e32 v30, 0x34f2, v12
	;; [unrolled: 1-line block ×3, first 2 shown]
	v_sub_f16_e32 v12, v36, v47
	v_sub_f16_e32 v19, v19, v38
	v_add_f16_e32 v36, v9, v11
	v_lshrrev_b32_e32 v38, 16, v7
	v_lshrrev_b32_e32 v47, 16, v13
	v_fmac_f16_e32 v14, 0x34f2, v18
	v_fmamk_f16 v80, v16, 0x3b9c, v78
	v_fmac_f16_e32 v22, 0x34f2, v18
	v_add_f16_e32 v12, v19, v12
	v_fma_f16 v18, -0.5, v36, v15
	v_sub_f16_e32 v19, v47, v38
	v_lshrrev_b32_e32 v36, 16, v9
	v_lshrrev_b32_e32 v81, 16, v11
	v_fmac_f16_e32 v78, 0xbb9c, v16
	v_fmac_f16_e32 v80, 0xb8b4, v31
	v_fmamk_f16 v16, v19, 0x3b9c, v18
	v_add_f16_e32 v82, v7, v13
	v_sub_f16_e32 v83, v81, v36
	v_sub_f16_e32 v84, v13, v11
	;; [unrolled: 1-line block ×3, first 2 shown]
	v_fmac_f16_e32 v18, 0xbb9c, v19
	v_fmac_f16_e32 v78, 0x38b4, v31
	;; [unrolled: 1-line block ×3, first 2 shown]
	v_fma_f16 v82, -0.5, v82, v15
	v_fmac_f16_e32 v16, 0x38b4, v83
	v_add_f16_e32 v31, v85, v84
	v_fmac_f16_e32 v18, 0xb8b4, v83
	v_fmac_f16_e32 v78, 0x34f2, v12
	v_pk_add_f16 v12, v13, v15
	v_pk_add_f16 v10, v10, v37
	v_add_f16_e32 v37, v36, v81
	v_lshrrev_b32_e32 v15, 16, v15
	v_fmamk_f16 v84, v83, 0xbb9c, v82
	v_fmac_f16_e32 v16, 0x34f2, v31
	v_fmac_f16_e32 v18, 0x34f2, v31
	v_sub_f16_e32 v31, v11, v13
	v_sub_f16_e32 v85, v9, v7
	v_fmac_f16_e32 v82, 0x3b9c, v83
	v_add_f16_e32 v83, v38, v47
	v_pk_add_f16 v8, v8, v10
	v_fma_f16 v10, -0.5, v37, v15
	v_sub_f16_e32 v13, v13, v7
	v_fmac_f16_e32 v84, 0x38b4, v19
	v_add_f16_e32 v31, v85, v31
	v_fmac_f16_e32 v82, 0xb8b4, v19
	v_sub_f16_e32 v19, v11, v9
	v_fmac_f16_e32 v15, -0.5, v83
	v_pk_add_f16 v6, v6, v8
	v_sub_f16_e32 v8, v81, v47
	v_sub_f16_e32 v37, v36, v38
	v_fmamk_f16 v83, v13, 0xbb9c, v10
	v_sub_f16_e32 v47, v47, v81
	v_sub_f16_e32 v36, v38, v36
	v_pk_add_f16 v11, v11, v12
	v_fmac_f16_e32 v10, 0x3b9c, v13
	v_fmac_f16_e32 v84, 0x34f2, v31
	;; [unrolled: 1-line block ×3, first 2 shown]
	v_fmamk_f16 v31, v19, 0x3b9c, v15
	v_fmac_f16_e32 v15, 0xbb9c, v19
	v_fmac_f16_e32 v83, 0xb8b4, v19
	v_add_f16_e32 v12, v36, v47
	v_pk_add_f16 v9, v9, v11
	v_fmac_f16_e32 v10, 0x38b4, v19
	v_fmac_f16_e32 v31, 0xb8b4, v13
	v_add_f16_e32 v8, v37, v8
	v_fmac_f16_e32 v15, 0x38b4, v13
	v_fmac_f16_e32 v83, 0x34f2, v12
	v_pk_add_f16 v7, v7, v9
	v_fmac_f16_e32 v10, 0x34f2, v12
	v_mul_f16_e32 v9, 0x3a79, v18
	v_fmac_f16_e32 v31, 0x34f2, v8
	v_fmac_f16_e32 v15, 0x34f2, v8
	v_mul_f16_e32 v13, 0x34f2, v82
	v_mul_f16_e32 v8, 0x38b4, v83
	;; [unrolled: 1-line block ×4, first 2 shown]
	v_fma_f16 v10, v10, 0x38b4, -v9
	v_pk_add_f16 v5, v39, v5
	v_pk_add_f16 v2, v43, v2
	v_mul_f16_e32 v11, 0x3b9c, v31
	v_fma_f16 v47, v15, 0x3b9c, -v13
	v_fmac_f16_e32 v8, 0x3a79, v16
	v_mul_f16_e32 v15, 0x34f2, v15
	v_mul_f16_e32 v9, 0xb8b4, v16
	v_fmac_f16_e32 v81, 0x34f2, v31
	v_add_f16_e32 v16, v21, v10
	v_sub_f16_e32 v31, v21, v10
	v_mul_lo_u16 v10, v62, 10
	v_pk_add_f16 v3, v5, v3
	v_pk_add_f16 v0, v2, v0
	v_fmac_f16_e32 v11, 0x34f2, v84
	v_fma_f16 v15, v82, 0xbb9c, -v15
	v_fma_f16 v82, v18, 0xb8b4, -v19
	v_fmac_f16_e32 v9, 0x3a79, v83
	v_and_b32_e32 v2, 0xffff, v10
	v_pk_add_f16 v5, v3, v1
	v_pk_add_f16 v10, v0, v20
	v_add_f16_e32 v12, v40, v11
	v_add_f16_e32 v13, v30, v47
	;; [unrolled: 1-line block ×5, first 2 shown]
	v_sub_f16_e32 v18, v4, v8
	v_sub_f16_e32 v19, v40, v11
	;; [unrolled: 1-line block ×3, first 2 shown]
	v_pk_add_f16 v21, v6, v7 neg_lo:[0,1] neg_hi:[0,1]
	v_sub_f16_e32 v39, v14, v9
	v_sub_f16_e32 v40, v80, v81
	;; [unrolled: 1-line block ×4, first 2 shown]
	v_add_lshl_u32 v78, v75, v2, 2
	v_pk_add_f16 v0, v5, v10
	v_pack_b32_f16 v1, v34, v23
	v_pack_b32_f16 v3, v42, v45
	;; [unrolled: 1-line block ×3, first 2 shown]
	v_pk_add_f16 v11, v5, v10 neg_lo:[0,1] neg_hi:[0,1]
	v_pack_b32_f16 v10, v25, v46
	v_pack_b32_f16 v25, v77, v79
	v_mul_u32_u24_e32 v79, 10, v26
	v_pack_b32_f16 v22, v32, v24
	v_pack_b32_f16 v23, v76, v17
	;; [unrolled: 1-line block ×3, first 2 shown]
	global_wb scope:SCOPE_SE
	s_wait_kmcnt 0x0
	s_barrier_signal -1
	s_barrier_wait -1
	global_inv scope:SCOPE_SE
	ds_store_2addr_b64 v78, v[0:1], v[2:3] offset1:1
	ds_store_2addr_b64 v78, v[10:11], v[22:23] offset0:2 offset1:3
	ds_store_b64 v78, v[24:25] offset:32
	s_and_saveexec_b32 s0, vcc_lo
	s_cbranch_execz .LBB0_7
; %bb.6:
	v_add_f16_e32 v1, v14, v9
	v_add_f16_e32 v4, v4, v8
	v_add_lshl_u32 v8, v75, v79, 2
	v_pk_add_f16 v0, v7, v6
	v_perm_b32 v3, v37, v13, 0x5040100
	v_perm_b32 v2, v36, v12, 0x5040100
	v_pack_b32_f16 v1, v4, v1
	v_perm_b32 v5, v40, v19, 0x5040100
	v_perm_b32 v4, v39, v18, 0x5040100
	;; [unrolled: 1-line block ×5, first 2 shown]
	ds_store_2addr_b64 v8, v[0:1], v[2:3] offset1:1
	ds_store_2addr_b64 v8, v[20:21], v[4:5] offset0:2 offset1:3
	ds_store_b64 v8, v[6:7] offset:32
.LBB0_7:
	s_wait_alu 0xfffe
	s_or_b32 exec_lo, exec_lo, s0
	v_add_nc_u32_e32 v0, 0x180, v49
	v_add_nc_u32_e32 v1, 0x680, v49
	;; [unrolled: 1-line block ×5, first 2 shown]
	global_wb scope:SCOPE_SE
	s_wait_dscnt 0x0
	s_barrier_signal -1
	s_barrier_wait -1
	global_inv scope:SCOPE_SE
	ds_load_2addr_b32 v[14:15], v0 offset0:24 offset1:224
	ds_load_2addr_b32 v[34:35], v1 offset0:24 offset1:224
	;; [unrolled: 1-line block ×5, first 2 shown]
	ds_load_b32 v20, v74
	ds_load_b32 v41, v49 offset:6880
	v_cmp_gt_u16_e64 s0, 0x50, v62
	s_delay_alu instid0(VALU_DEP_1)
	s_and_saveexec_b32 s1, s0
	s_cbranch_execz .LBB0_9
; %bb.8:
	v_add_nc_u32_e32 v0, 0xc0, v49
	ds_load_2addr_stride64_b32 v[12:13], v0 offset0:3 offset1:8
	ds_load_2addr_stride64_b32 v[16:17], v0 offset0:13 offset1:18
	;; [unrolled: 1-line block ×3, first 2 shown]
	s_wait_dscnt 0x2
	v_lshrrev_b32_e32 v36, 16, v12
	s_wait_dscnt 0x1
	v_mov_b32_e32 v21, v17
	v_lshrrev_b32_e32 v37, 16, v13
	v_lshrrev_b32_e32 v38, 16, v16
	s_wait_dscnt 0x0
	v_lshrrev_b32_e32 v39, 16, v18
	v_lshrrev_b32_e32 v40, 16, v19
.LBB0_9:
	s_wait_alu 0xfffe
	s_or_b32 exec_lo, exec_lo, s1
	v_and_b32_e32 v0, 0xff, v62
	v_and_b32_e32 v1, 0xff, v26
	v_add_nc_u16 v42, v62, 0xf0
	s_wait_dscnt 0x5
	v_lshrrev_b32_e32 v90, 16, v35
	s_wait_dscnt 0x4
	v_lshrrev_b32_e32 v102, 16, v33
	v_mul_lo_u16 v0, 0xcd, v0
	v_mul_lo_u16 v1, 0xcd, v1
	v_and_b32_e32 v2, 0xffff, v42
	s_wait_dscnt 0x3
	v_lshrrev_b32_e32 v103, 16, v25
	s_wait_dscnt 0x2
	v_lshrrev_b32_e32 v104, 16, v23
	v_lshrrev_b16 v17, 11, v0
	v_lshrrev_b16 v44, 11, v1
	v_mul_u32_u24_e32 v4, 0xcccd, v2
	v_lshrrev_b32_e32 v106, 16, v34
	v_lshrrev_b32_e32 v107, 16, v32
	v_mul_lo_u16 v0, v17, 10
	v_mul_lo_u16 v1, v44, 10
	v_lshrrev_b32_e32 v46, 19, v4
	v_and_b32_e32 v17, 0xffff, v17
	v_and_b32_e32 v44, 0xffff, v44
	v_sub_nc_u16 v0, v62, v0
	v_sub_nc_u16 v1, v26, v1
	v_mul_lo_u16 v43, v46, 10
	v_mul_u32_u24_e32 v17, 60, v17
	v_mul_u32_u24_e32 v44, 60, v44
	v_and_b32_e32 v26, 0xff, v0
	v_and_b32_e32 v45, 0xff, v1
	v_sub_nc_u16 v47, v42, v43
	v_lshrrev_b32_e32 v108, 16, v24
	v_lshrrev_b32_e32 v109, 16, v22
	v_mad_co_u64_u32 v[0:1], null, v26, 20, s[2:3]
	v_mad_co_u64_u32 v[2:3], null, v45, 20, s[2:3]
	v_add_nc_u32_e32 v17, v17, v26
	v_add_nc_u32_e32 v26, v44, v45
	s_wait_dscnt 0x0
	v_lshrrev_b32_e32 v44, 16, v41
	v_lshrrev_b32_e32 v45, 16, v21
	s_clause 0x2
	global_load_b128 v[8:11], v[0:1], off
	global_load_b32 v82, v[0:1], off offset:16
	global_load_b128 v[4:7], v[2:3], off
	v_mul_lo_u16 v0, v47, 20
	global_load_b32 v80, v[2:3], off offset:16
	v_mad_u16 v77, v46, 60, v47
	v_add_lshl_u32 v86, v75, v17, 2
	v_add_lshl_u32 v85, v75, v26, 2
	v_and_b32_e32 v0, 0xffff, v0
	v_lshrrev_b32_e32 v105, 16, v14
	s_delay_alu instid0(VALU_DEP_2)
	v_add_co_u32 v42, s1, s2, v0
	s_wait_alu 0xf1ff
	v_add_co_ci_u32_e64 v43, null, s3, 0, s1
	s_clause 0x1
	global_load_b128 v[0:3], v[42:43], off
	global_load_b32 v76, v[42:43], off offset:16
	v_lshrrev_b32_e32 v43, 16, v15
	v_lshrrev_b32_e32 v42, 16, v20
	global_wb scope:SCOPE_SE
	s_wait_loadcnt 0x0
	s_barrier_signal -1
	s_barrier_wait -1
	global_inv scope:SCOPE_SE
	v_lshrrev_b32_e32 v97, 16, v82
	v_lshrrev_b32_e32 v101, 16, v8
	;; [unrolled: 1-line block ×10, first 2 shown]
	v_mul_f16_e32 v17, v43, v101
	v_mul_f16_e32 v46, v15, v101
	;; [unrolled: 1-line block ×18, first 2 shown]
	v_lshrrev_b32_e32 v84, 16, v0
	v_lshrrev_b32_e32 v81, 16, v1
	;; [unrolled: 1-line block ×5, first 2 shown]
	v_mul_f16_e32 v124, v44, v92
	v_mul_f16_e32 v123, v22, v93
	v_fmac_f16_e32 v46, v43, v8
	v_fma_f16 v43, v15, v8, -v17
	v_fma_f16 v26, v35, v9, -v26
	v_fmac_f16_e32 v47, v90, v9
	v_fma_f16 v33, v33, v10, -v110
	v_fmac_f16_e32 v111, v102, v10
	;; [unrolled: 2-line block ×8, first 2 shown]
	v_mul_f16_e32 v44, v37, v84
	v_mul_f16_e32 v103, v38, v81
	;; [unrolled: 1-line block ×7, first 2 shown]
	v_fma_f16 v41, v41, v80, -v124
	v_fmac_f16_e32 v123, v109, v7
	v_mul_f16_e32 v15, v13, v84
	v_mul_f16_e32 v23, v16, v81
	;; [unrolled: 1-line block ×3, first 2 shown]
	v_add_f16_e32 v108, v20, v26
	v_add_f16_e32 v109, v26, v35
	;; [unrolled: 1-line block ×5, first 2 shown]
	v_sub_f16_e32 v118, v111, v115
	v_add_f16_e32 v120, v46, v111
	v_add_f16_e32 v111, v111, v115
	;; [unrolled: 1-line block ×5, first 2 shown]
	v_sub_f16_e64 v128, v25, v34
	v_add_f16_e64 v129, v102, v32
	v_sub_f16_e64 v131, v121, v125
	v_add_f16_e64 v132, v117, v121
	v_add_f16_e32 v121, v121, v125
	v_fma_f16 v25, v16, v1, -v103
	v_fma_f16 v16, v21, v2, -v104
	v_fmac_f16_e32 v24, v45, v2
	v_fma_f16 v21, v13, v0, -v44
	v_fma_f16 v13, v18, v3, -v106
	v_fma_f16 v18, v19, v76, -v107
	v_fmac_f16_e32 v22, v40, v76
	v_add_f16_e64 v130, v32, v41
	v_sub_f16_e32 v110, v47, v113
	v_add_f16_e32 v47, v47, v113
	v_sub_f16_e32 v26, v26, v35
	v_sub_f16_e32 v33, v33, v90
	;; [unrolled: 1-line block ×3, first 2 shown]
	v_fmac_f16_e32 v15, v37, v0
	v_fmac_f16_e32 v23, v38, v1
	;; [unrolled: 1-line block ×3, first 2 shown]
	v_add_f16_e32 v19, v108, v35
	v_fmac_f16_e32 v20, -0.5, v109
	v_add_f16_e32 v35, v112, v113
	v_add_f16_e32 v37, v114, v90
	v_fmac_f16_e32 v43, -0.5, v116
	v_add_f16_e32 v38, v120, v115
	v_fmac_f16_e32 v46, -0.5, v111
	v_add_f16_e32 v34, v122, v34
	v_add_f16_e32 v39, v127, v123
	v_add_f16_e64 v40, v129, v41
	v_add_f16_e64 v41, v132, v125
	v_fmac_f16_e32 v117, -0.5, v121
	v_add_f16_e32 v44, v25, v13
	v_add_f16_e32 v103, v16, v18
	;; [unrolled: 1-line block ×3, first 2 shown]
	v_fmac_f16_e64 v102, -0.5, v130
	v_sub_f16_e32 v126, v119, v123
	v_add_f16_e32 v119, v119, v123
	v_fmac_f16_e32 v42, -0.5, v47
	v_add_f16_e32 v47, v23, v17
	v_sub_f16_e32 v104, v24, v22
	v_sub_f16_e32 v107, v16, v18
	v_fmamk_f16 v108, v110, 0x3aee, v20
	v_fmac_f16_e32 v20, 0xbaee, v110
	v_fmamk_f16 v110, v118, 0x3aee, v43
	v_fmamk_f16 v111, v33, 0xbaee, v46
	v_fmac_f16_e32 v46, 0x3aee, v33
	v_add_f16_e32 v33, v19, v37
	v_add_f16_e32 v112, v35, v38
	v_sub_f16_e32 v37, v19, v37
	v_fmamk_f16 v115, v32, 0xbaee, v117
	v_fmac_f16_e32 v117, 0x3aee, v32
	v_add_f16_e32 v32, v34, v40
	v_add_f16_e32 v116, v39, v41
	v_sub_f16_e32 v39, v39, v41
	v_fma_f16 v19, -0.5, v44, v12
	v_fma_f16 v41, -0.5, v103, v21
	;; [unrolled: 1-line block ×3, first 2 shown]
	v_fmac_f16_e32 v43, 0xbaee, v118
	v_sub_f16_e32 v35, v35, v38
	v_fma_f16 v38, 0x3aee, v131, v102
	v_fmac_f16_e64 v102, 0xbaee, v131
	v_fmac_f16_e32 v105, -0.5, v119
	v_fmamk_f16 v109, v26, 0xbaee, v42
	v_fmac_f16_e32 v42, 0x3aee, v26
	v_sub_f16_e32 v34, v34, v40
	v_fma_f16 v26, -0.5, v47, v36
	v_mul_f16_e32 v47, 0x3aee, v111
	v_mul_f16_e32 v106, 0xbaee, v110
	;; [unrolled: 1-line block ×3, first 2 shown]
	v_pack_b32_f16 v112, v33, v112
	v_pack_b32_f16 v116, v32, v116
	v_fmamk_f16 v32, v104, 0x3aee, v41
	v_fmac_f16_e32 v41, 0xbaee, v104
	v_fmamk_f16 v33, v107, 0xbaee, v44
	v_fmac_f16_e32 v44, 0x3aee, v107
	v_mul_f16_e32 v103, -0.5, v43
	v_mul_f16_e32 v118, -0.5, v46
	v_fmac_f16_e32 v14, -0.5, v124
	v_mul_f16_e32 v121, 0xbaee, v38
	v_mul_f16_e32 v120, -0.5, v102
	v_mul_f16_e32 v122, -0.5, v117
	v_sub_f16_e32 v45, v23, v17
	v_sub_f16_e32 v90, v25, v13
	v_pack_b32_f16 v123, v37, v35
	v_pack_b32_f16 v124, v34, v39
	v_fmac_f16_e32 v47, 0.5, v110
	v_fmac_f16_e32 v106, 0.5, v111
	;; [unrolled: 1-line block ×3, first 2 shown]
	v_mul_f16_e32 v37, 0x3aee, v33
	v_mul_f16_e32 v38, -0.5, v41
	v_mul_f16_e32 v39, 0xbaee, v32
	v_mul_f16_e32 v40, -0.5, v44
	v_fmac_f16_e32 v103, 0x3aee, v46
	v_fmac_f16_e32 v118, 0xbaee, v43
	v_fmamk_f16 v113, v126, 0x3aee, v14
	v_fma_f16 v114, 0xbaee, v128, v105
	v_fmac_f16_e32 v121, 0.5, v115
	v_fmac_f16_e32 v14, 0xbaee, v126
	v_fmac_f16_e64 v105, 0x3aee, v128
	v_fmac_f16_e32 v120, 0x3aee, v117
	v_fmac_f16_e32 v122, 0xbaee, v102
	v_fmamk_f16 v34, v45, 0x3aee, v19
	v_fmac_f16_e32 v19, 0xbaee, v45
	v_fmamk_f16 v35, v90, 0xbaee, v26
	v_fmac_f16_e32 v26, 0x3aee, v90
	v_add_f16_e32 v43, v108, v47
	v_add_f16_e32 v46, v109, v106
	v_fmac_f16_e32 v37, 0.5, v32
	v_fmac_f16_e32 v38, 0x3aee, v44
	v_fmac_f16_e32 v39, 0.5, v33
	v_fmac_f16_e32 v40, 0xbaee, v41
	v_add_f16_e32 v45, v20, v103
	v_add_f16_e32 v90, v42, v118
	v_sub_f16_e32 v47, v108, v47
	v_sub_f16_e32 v20, v20, v103
	;; [unrolled: 1-line block ×4, first 2 shown]
	v_add_f16_e32 v103, v113, v119
	v_add_f16_e32 v106, v114, v121
	;; [unrolled: 1-line block ×4, first 2 shown]
	v_sub_f16_e32 v108, v113, v119
	v_sub_f16_e32 v14, v14, v120
	;; [unrolled: 1-line block ×4, first 2 shown]
	v_pack_b32_f16 v41, v43, v46
	v_sub_f16_e32 v32, v34, v37
	v_sub_f16_e32 v33, v19, v38
	v_sub_f16_e64 v134, v35, v39
	v_sub_f16_e64 v133, v26, v40
	v_pack_b32_f16 v43, v45, v90
	v_pack_b32_f16 v44, v47, v102
	v_pack_b32_f16 v20, v20, v42
	v_pack_b32_f16 v42, v103, v106
	v_pack_b32_f16 v45, v104, v107
	v_pack_b32_f16 v46, v108, v109
	v_pack_b32_f16 v14, v14, v105
	ds_store_2addr_b32 v86, v112, v41 offset1:10
	ds_store_2addr_b32 v86, v43, v123 offset0:20 offset1:30
	ds_store_2addr_b32 v86, v44, v20 offset0:40 offset1:50
	ds_store_2addr_b32 v85, v116, v42 offset1:10
	ds_store_2addr_b32 v85, v45, v124 offset0:20 offset1:30
	ds_store_2addr_b32 v85, v46, v14 offset0:40 offset1:50
	s_and_saveexec_b32 s1, s0
	s_cbranch_execz .LBB0_11
; %bb.10:
	v_add_f16_e32 v14, v36, v23
	v_add_f16_e32 v15, v15, v24
	;; [unrolled: 1-line block ×11, first 2 shown]
	v_sub_f16_e32 v18, v14, v15
	v_add_f16_e32 v14, v14, v15
	v_and_b32_e32 v15, 0xffff, v77
	v_add_f16_e32 v20, v12, v13
	v_add_f16_e32 v19, v19, v38
	v_sub_f16_e32 v12, v12, v13
	s_delay_alu instid0(VALU_DEP_4) | instskip(NEXT) | instid1(VALU_DEP_4)
	v_add_lshl_u32 v13, v75, v15, 2
	v_pack_b32_f16 v14, v20, v14
	v_pack_b32_f16 v15, v21, v16
	;; [unrolled: 1-line block ×4, first 2 shown]
	v_perm_b32 v17, v134, v32, 0x5040100
	v_perm_b32 v18, v133, v33, 0x5040100
	ds_store_2addr_b32 v13, v14, v15 offset1:10
	ds_store_2addr_b32 v13, v16, v12 offset0:20 offset1:30
	ds_store_2addr_b32 v13, v17, v18 offset0:40 offset1:50
.LBB0_11:
	s_wait_alu 0xfffe
	s_or_b32 exec_lo, exec_lo, s1
	v_subrev_nc_u32_e32 v12, 60, v62
	v_cmp_gt_u16_e64 s1, 60, v62
	global_wb scope:SCOPE_SE
	s_wait_dscnt 0x0
	s_barrier_signal -1
	s_barrier_wait -1
	global_inv scope:SCOPE_SE
	s_wait_alu 0xf1ff
	v_cndmask_b32_e64 v45, v12, v62, s1
	v_add_nc_u32_e32 v40, 0x400, v49
	v_add_nc_u32_e32 v42, 0xc00, v49
	;; [unrolled: 1-line block ×4, first 2 shown]
	v_mul_i32_i24_e32 v12, 60, v45
	v_mul_hi_i32_i24_e32 v13, 60, v45
	v_add_nc_u32_e32 v110, 0x1400, v49
	v_add_nc_u32_e32 v112, 0x1800, v49
	v_lshlrev_b32_e32 v41, 2, v62
	v_add_co_u32 v24, s1, s2, v12
	s_wait_alu 0xf1ff
	v_add_co_ci_u32_e64 v25, s1, s3, v13, s1
	v_cmp_lt_u16_e64 s1, 59, v62
	s_clause 0x3
	global_load_b128 v[20:23], v[24:25], off offset:200
	global_load_b128 v[16:19], v[24:25], off offset:216
	;; [unrolled: 1-line block ×3, first 2 shown]
	global_load_b96 v[24:26], v[24:25], off offset:248
	ds_load_b32 v47, v74
	ds_load_2addr_b32 v[34:35], v49 offset0:120 offset1:240
	s_wait_alu 0xf1ff
	v_cndmask_b32_e64 v46, 0, 0x3c0, s1
	ds_load_b32 v108, v49 offset:7200
	ds_load_2addr_b32 v[36:37], v40 offset0:104 offset1:224
	ds_load_2addr_b32 v[38:39], v43 offset0:88 offset1:208
	v_or_b32_e32 v90, v45, v46
	ds_load_2addr_b32 v[45:46], v42 offset0:72 offset1:192
	ds_load_2addr_b32 v[102:103], v44 offset0:56 offset1:176
	;; [unrolled: 1-line block ×4, first 2 shown]
	global_wb scope:SCOPE_SE
	s_wait_loadcnt_dscnt 0x0
	s_barrier_signal -1
	s_barrier_wait -1
	v_add_lshl_u32 v90, v75, v90, 2
	global_inv scope:SCOPE_SE
	v_add_nc_u32_e32 v122, 0x400, v90
	v_add_nc_u32_e32 v135, 0x800, v90
	;; [unrolled: 1-line block ×3, first 2 shown]
	v_lshrrev_b32_e32 v109, 16, v47
	v_lshrrev_b32_e32 v115, 16, v34
	;; [unrolled: 1-line block ×16, first 2 shown]
	v_add_nc_u32_e32 v137, 0xc00, v90
	v_add_nc_u32_e32 v120, 0x200, v90
	v_add_nc_u32_e32 v125, 0x600, v90
	v_lshrrev_b32_e32 v132, 16, v20
	v_lshrrev_b32_e32 v131, 16, v21
	v_lshrrev_b32_e32 v130, 16, v22
	v_lshrrev_b32_e32 v129, 16, v23
	v_lshrrev_b32_e32 v128, 16, v16
	v_lshrrev_b32_e32 v127, 16, v17
	v_lshrrev_b32_e32 v126, 16, v18
	v_lshrrev_b32_e32 v124, 16, v19
	v_lshrrev_b32_e32 v123, 16, v12
	v_lshrrev_b32_e32 v121, 16, v13
	v_lshrrev_b32_e32 v118, 16, v14
	v_lshrrev_b32_e32 v117, 16, v15
	v_lshrrev_b32_e32 v114, 16, v24
	v_lshrrev_b32_e32 v113, 16, v25
	v_lshrrev_b32_e32 v111, 16, v26
	v_mul_f16_e64 v150, v115, v132
	v_mul_f16_e64 v151, v34, v132
	;; [unrolled: 1-line block ×30, first 2 shown]
	v_fma_f16 v34, v34, v20, -v150
	v_fmac_f16_e64 v151, v115, v20
	v_fma_f16 v35, v35, v21, -v152
	v_fmac_f16_e64 v153, v116, v21
	;; [unrolled: 2-line block ×15, first 2 shown]
	v_sub_f16_e32 v46, v47, v46
	v_sub_f16_e64 v115, v109, v165
	v_sub_f16_e32 v105, v37, v105
	v_sub_f16_e64 v116, v157, v173
	;; [unrolled: 2-line block ×8, first 2 shown]
	v_fma_f16 v109, v109, 2.0, -v115
	v_fma_f16 v37, v37, 2.0, -v105
	;; [unrolled: 1-line block ×12, first 2 shown]
	v_sub_f16_e32 v116, v46, v116
	v_add_f16_e32 v105, v115, v105
	v_sub_f16_e64 v138, v103, v138
	v_add_f16_e32 v107, v119, v107
	v_sub_f16_e64 v140, v102, v140
	v_add_f16_e64 v106, v139, v106
	v_sub_f16_e64 v142, v104, v142
	v_add_f16_e64 v108, v141, v108
	v_fma_f16 v47, v47, 2.0, -v46
	v_fma_f16 v35, v35, 2.0, -v103
	;; [unrolled: 1-line block ×4, first 2 shown]
	v_sub_f16_e64 v143, v109, v143
	v_fma_f16 v46, v46, 2.0, -v116
	v_fma_f16 v115, v115, 2.0, -v105
	v_sub_f16_e64 v145, v144, v145
	v_fma_f16 v103, v103, 2.0, -v138
	v_fma_f16 v119, v119, 2.0, -v107
	;; [unrolled: 3-line block ×4, first 2 shown]
	v_fma_f16 v150, 0x39a8, v138, v116
	v_fma_f16 v151, 0x39a8, v107, v105
	v_sub_f16_e32 v37, v47, v37
	v_sub_f16_e32 v39, v35, v39
	;; [unrolled: 1-line block ×4, first 2 shown]
	v_fma_f16 v152, 0x39a8, v142, v140
	v_fma_f16 v153, 0x39a8, v108, v106
	v_fma_f16 v109, v109, 2.0, -v143
	v_fma_f16 v144, v144, 2.0, -v145
	v_fma_f16 v146, v146, 2.0, -v147
	v_fma_f16 v148, v148, 2.0, -v149
	v_fma_f16 v154, 0xb9a8, v103, v46
	v_fma_f16 v155, 0xb9a8, v119, v115
	v_fmac_f16_e64 v150, 0xb9a8, v107
	v_fmac_f16_e64 v151, 0x39a8, v138
	v_fmamk_f16 v107, v104, 0xb9a8, v102
	v_fma_f16 v138, 0xb9a8, v141, v139
	v_fma_f16 v35, v35, 2.0, -v39
	v_fma_f16 v36, v36, 2.0, -v45
	v_sub_f16_e64 v145, v37, v145
	v_add_f16_e64 v39, v143, v39
	v_sub_f16_e64 v149, v38, v149
	v_add_f16_e64 v45, v147, v45
	v_fmac_f16_e64 v152, 0xb9a8, v108
	v_fmac_f16_e64 v153, 0x39a8, v142
	v_fma_f16 v47, v47, 2.0, -v37
	v_fma_f16 v34, v34, 2.0, -v38
	v_sub_f16_e64 v108, v109, v144
	v_fmac_f16_e64 v154, 0xb9a8, v119
	v_fmac_f16_e64 v155, 0x39a8, v103
	v_sub_f16_e64 v119, v146, v148
	v_fmac_f16_e64 v107, 0xb9a8, v141
	v_fmac_f16_e64 v138, 0x39a8, v104
	v_fma_f16 v37, v37, 2.0, -v145
	v_fma_f16 v103, v143, 2.0, -v39
	;; [unrolled: 1-line block ×8, first 2 shown]
	v_sub_f16_e32 v35, v47, v35
	v_sub_f16_e32 v36, v34, v36
	v_fma_f16 v141, 0x39a8, v149, v145
	v_fma_f16 v142, 0x39a8, v45, v39
	;; [unrolled: 1-line block ×4, first 2 shown]
	v_fma_f16 v109, v109, 2.0, -v108
	v_fma_f16 v46, v46, 2.0, -v154
	;; [unrolled: 1-line block ×6, first 2 shown]
	v_fma_f16 v147, 0xb9a8, v38, v37
	v_fma_f16 v148, 0xb9a8, v104, v103
	;; [unrolled: 1-line block ×6, first 2 shown]
	v_fma_f16 v34, v34, 2.0, -v36
	v_sub_f16_e32 v119, v35, v119
	v_add_f16_e32 v36, v108, v36
	v_fmac_f16_e64 v141, 0xb9a8, v45
	v_fmac_f16_e64 v142, 0x39a8, v149
	v_fmac_f16_e64 v143, 0xb61f, v153
	v_fmac_f16_e64 v144, 0x361f, v152
	v_fma_f16 v47, v47, 2.0, -v35
	v_sub_f16_e64 v45, v109, v146
	v_fma_f16 v146, 0xbb64, v102, v46
	v_fma_f16 v149, 0xbb64, v139, v115
	v_fmac_f16_e64 v147, 0xb9a8, v104
	v_fmac_f16_e64 v148, 0x39a8, v38
	;; [unrolled: 1-line block ×6, first 2 shown]
	v_fma_f16 v35, v35, 2.0, -v119
	v_fma_f16 v38, v108, 2.0, -v36
	;; [unrolled: 1-line block ×6, first 2 shown]
	v_sub_f16_e32 v34, v47, v34
	v_fmac_f16_e64 v146, 0xb61f, v139
	v_fmac_f16_e64 v149, 0x361f, v102
	v_fma_f16 v37, v37, 2.0, -v147
	v_fma_f16 v102, v103, 2.0, -v148
	;; [unrolled: 1-line block ×6, first 2 shown]
	v_pack_b32_f16 v35, v35, v38
	v_pack_b32_f16 v38, v104, v39
	;; [unrolled: 1-line block ×3, first 2 shown]
	v_fma_f16 v47, v47, 2.0, -v34
	v_fma_f16 v109, v109, 2.0, -v45
	;; [unrolled: 1-line block ×4, first 2 shown]
	v_pack_b32_f16 v36, v119, v36
	v_pack_b32_f16 v108, v141, v142
	;; [unrolled: 1-line block ×10, first 2 shown]
	ds_store_2addr_b32 v122, v38, v39 offset0:104 offset1:164
	v_pack_b32_f16 v38, v146, v149
	v_pack_b32_f16 v47, v47, v109
	;; [unrolled: 1-line block ×3, first 2 shown]
	ds_store_2addr_b32 v137, v108, v119 offset0:72 offset1:132
	ds_store_2addr_b32 v135, v45, v104 offset0:88 offset1:148
	;; [unrolled: 1-line block ×6, first 2 shown]
	ds_store_2addr_b32 v90, v47, v39 offset1:60
	global_wb scope:SCOPE_SE
	s_wait_dscnt 0x0
	s_barrier_signal -1
	s_barrier_wait -1
	global_inv scope:SCOPE_SE
	s_clause 0x7
	global_load_b32 v107, v41, s[2:3] offset:3800
	global_load_b32 v102, v41, s[2:3] offset:4280
	;; [unrolled: 1-line block ×8, first 2 shown]
	ds_load_b32 v47, v74
	ds_load_2addr_b32 v[45:46], v42 offset0:72 offset1:192
	ds_load_2addr_b32 v[139:140], v49 offset0:120 offset1:240
	;; [unrolled: 1-line block ×7, first 2 shown]
	ds_load_b32 v135, v49 offset:7200
	v_add_nc_u32_e32 v145, 0x1480, v49
	v_add_nc_u32_e32 v146, 0x1680, v49
	s_add_nc_u64 s[2:3], s[12:13], 0x1e00
	s_wait_dscnt 0x8
	v_lshrrev_b32_e32 v147, 16, v47
	s_wait_dscnt 0x7
	v_lshrrev_b32_e32 v136, 16, v46
	;; [unrolled: 2-line block ×4, first 2 shown]
	v_lshrrev_b32_e32 v138, 16, v35
	s_wait_dscnt 0x3
	v_lshrrev_b32_e32 v151, 16, v36
	v_lshrrev_b32_e32 v153, 16, v37
	s_wait_dscnt 0x1
	v_lshrrev_b32_e32 v155, 16, v38
	;; [unrolled: 3-line block ×3, first 2 shown]
	v_lshrrev_b32_e32 v149, 16, v140
	v_lshrrev_b32_e32 v150, 16, v141
	;; [unrolled: 1-line block ×6, first 2 shown]
	s_wait_loadcnt 0x7
	v_lshrrev_b32_e32 v125, 16, v107
	s_wait_loadcnt 0x6
	v_lshrrev_b32_e32 v122, 16, v102
	;; [unrolled: 2-line block ×8, first 2 shown]
	v_mul_f16_e64 v160, v136, v125
	v_mul_f16_e64 v161, v46, v125
	;; [unrolled: 1-line block ×16, first 2 shown]
	v_fma_f16 v46, v46, v107, -v160
	v_fmac_f16_e64 v161, v136, v107
	v_fma_f16 v34, v34, v102, -v162
	v_fmac_f16_e64 v163, v137, v102
	;; [unrolled: 2-line block ×8, first 2 shown]
	v_sub_f16_e32 v46, v47, v46
	v_sub_f16_e64 v151, v147, v161
	v_sub_f16_e64 v153, v139, v34
	;; [unrolled: 1-line block ×15, first 2 shown]
	v_fma_f16 v47, v47, 2.0, -v46
	v_fma_f16 v147, v147, 2.0, -v151
	;; [unrolled: 1-line block ×16, first 2 shown]
	v_pack_b32_f16 v47, v47, v147
	v_pack_b32_f16 v147, v164, v148
	;; [unrolled: 1-line block ×16, first 2 shown]
	ds_store_b32 v74, v47
	ds_store_2addr_b32 v49, v147, v148 offset0:120 offset1:240
	ds_store_2addr_b32 v44, v46, v143 offset0:56 offset1:176
	ds_store_2addr_b32 v40, v141, v142 offset0:104 offset1:224
	ds_store_2addr_b32 v145, v144, v153 offset0:8 offset1:248
	ds_store_2addr_b32 v43, v149, v150 offset0:88 offset1:208
	ds_store_2addr_b32 v146, v151, v154 offset1:240
	ds_store_2addr_b32 v42, v152, v45 offset0:72 offset1:192
	ds_store_b32 v49, v155 offset:7200
	global_wb scope:SCOPE_SE
	s_wait_dscnt 0x0
	s_barrier_signal -1
	s_barrier_wait -1
	global_inv scope:SCOPE_SE
	s_clause 0x9
	global_load_b32 v40, v[27:28], off offset:7680
	global_load_b32 v143, v41, s[2:3] offset:768
	global_load_b32 v144, v41, s[2:3] offset:1536
	;; [unrolled: 1-line block ×9, first 2 shown]
	ds_load_b32 v42, v74
	s_wait_dscnt 0x0
	v_lshrrev_b32_e32 v43, 16, v42
	s_wait_loadcnt 0x7
	v_lshrrev_b32_e32 v152, 16, v144
	s_wait_loadcnt 0x6
	v_lshrrev_b32_e32 v153, 16, v145
	s_wait_loadcnt 0x5
	v_lshrrev_b32_e32 v154, 16, v146
	s_wait_loadcnt 0x4
	v_lshrrev_b32_e32 v155, 16, v147
	s_wait_loadcnt 0x3
	v_lshrrev_b32_e32 v156, 16, v148
	s_wait_loadcnt 0x2
	v_lshrrev_b32_e32 v158, 16, v149
	v_lshrrev_b32_e32 v44, 16, v40
	s_wait_loadcnt 0x1
	v_lshrrev_b32_e32 v159, 16, v150
	s_wait_loadcnt 0x0
	v_lshrrev_b32_e32 v160, 16, v151
	v_mul_f16_e32 v45, v43, v44
	v_mul_f16_e32 v44, v42, v44
	s_delay_alu instid0(VALU_DEP_2) | instskip(NEXT) | instid1(VALU_DEP_2)
	v_fma_f16 v42, v42, v40, -v45
	v_fmac_f16_e32 v44, v43, v40
	s_delay_alu instid0(VALU_DEP_1)
	v_pack_b32_f16 v40, v42, v44
	ds_store_b32 v74, v40
	ds_load_2addr_stride64_b32 v[42:43], v49 offset0:3 offset1:6
	ds_load_2addr_stride64_b32 v[44:45], v49 offset0:9 offset1:12
	;; [unrolled: 1-line block ×4, first 2 shown]
	ds_load_b32 v157, v49 offset:6912
	v_lshrrev_b32_e32 v40, 16, v143
	s_wait_dscnt 0x4
	v_lshrrev_b32_e32 v161, 16, v42
	v_lshrrev_b32_e32 v163, 16, v43
	s_wait_dscnt 0x3
	v_lshrrev_b32_e32 v165, 16, v44
	;; [unrolled: 3-line block ×5, first 2 shown]
	v_mul_f16_e64 v162, v42, v40
	v_mul_f16_e64 v164, v43, v152
	;; [unrolled: 1-line block ×18, first 2 shown]
	v_fmac_f16_e64 v162, v161, v143
	v_fmac_f16_e64 v164, v163, v144
	v_fma_f16 v40, v42, v143, -v40
	v_fma_f16 v42, v43, v144, -v152
	v_fmac_f16_e64 v166, v165, v145
	v_fmac_f16_e64 v168, v167, v146
	v_fma_f16 v43, v44, v145, -v153
	v_fma_f16 v44, v45, v146, -v154
	;; [unrolled: 4-line block ×4, first 2 shown]
	v_fmac_f16_e64 v178, v177, v151
	v_fma_f16 v142, v157, v151, -v160
	v_pack_b32_f16 v40, v40, v162
	v_pack_b32_f16 v42, v42, v164
	;; [unrolled: 1-line block ×9, first 2 shown]
	ds_store_2addr_stride64_b32 v49, v40, v42 offset0:3 offset1:6
	ds_store_2addr_stride64_b32 v49, v43, v44 offset0:9 offset1:12
	;; [unrolled: 1-line block ×4, first 2 shown]
	ds_store_b32 v49, v142 offset:6912
	s_and_saveexec_b32 s1, vcc_lo
	s_cbranch_execz .LBB0_13
; %bb.12:
	s_wait_alu 0xfffe
	v_add_co_u32 v40, s2, s2, v41
	s_wait_alu 0xf1ff
	v_add_co_ci_u32_e64 v41, null, s3, 0, s2
	v_add_nc_u32_e32 v153, 0xe0, v49
	s_clause 0x9
	global_load_b32 v143, v[40:41], off offset:480
	global_load_b32 v144, v[40:41], off offset:1248
	;; [unrolled: 1-line block ×10, first 2 shown]
	ds_load_2addr_stride64_b32 v[40:41], v153 offset0:1 offset1:4
	ds_load_2addr_stride64_b32 v[42:43], v153 offset0:7 offset1:10
	;; [unrolled: 1-line block ×5, first 2 shown]
	s_wait_dscnt 0x4
	v_lshrrev_b32_e32 v154, 16, v40
	v_lshrrev_b32_e32 v155, 16, v41
	s_wait_dscnt 0x3
	v_lshrrev_b32_e32 v156, 16, v42
	v_lshrrev_b32_e32 v157, 16, v43
	;; [unrolled: 3-line block ×5, first 2 shown]
	s_wait_loadcnt 0x9
	v_lshrrev_b32_e32 v164, 16, v143
	s_wait_loadcnt 0x8
	v_lshrrev_b32_e32 v165, 16, v144
	s_wait_loadcnt 0x7
	v_lshrrev_b32_e32 v166, 16, v145
	s_wait_loadcnt 0x6
	v_lshrrev_b32_e32 v167, 16, v146
	s_wait_loadcnt 0x5
	v_lshrrev_b32_e32 v168, 16, v147
	s_wait_loadcnt 0x4
	v_lshrrev_b32_e32 v169, 16, v148
	s_wait_loadcnt 0x3
	v_lshrrev_b32_e32 v170, 16, v149
	s_wait_loadcnt 0x2
	v_lshrrev_b32_e32 v171, 16, v150
	s_wait_loadcnt 0x1
	v_lshrrev_b32_e32 v172, 16, v151
	s_wait_loadcnt 0x0
	v_lshrrev_b32_e32 v173, 16, v152
	v_mul_f16_e64 v174, v154, v164
	v_mul_f16_e64 v164, v40, v164
	;; [unrolled: 1-line block ×20, first 2 shown]
	v_fma_f16 v40, v40, v143, -v174
	v_fmac_f16_e64 v164, v154, v143
	v_fma_f16 v41, v41, v144, -v175
	v_fmac_f16_e64 v165, v155, v144
	;; [unrolled: 2-line block ×10, first 2 shown]
	v_pack_b32_f16 v40, v40, v164
	v_pack_b32_f16 v41, v41, v165
	;; [unrolled: 1-line block ×10, first 2 shown]
	ds_store_2addr_stride64_b32 v153, v40, v41 offset0:1 offset1:4
	ds_store_2addr_stride64_b32 v153, v42, v43 offset0:7 offset1:10
	;; [unrolled: 1-line block ×5, first 2 shown]
.LBB0_13:
	s_wait_alu 0xfffe
	s_or_b32 exec_lo, exec_lo, s1
	global_wb scope:SCOPE_SE
	s_wait_dscnt 0x0
	s_barrier_signal -1
	s_barrier_wait -1
	global_inv scope:SCOPE_SE
	ds_load_2addr_stride64_b32 v[46:47], v49 offset0:3 offset1:6
	ds_load_2addr_stride64_b32 v[44:45], v49 offset0:9 offset1:12
	;; [unrolled: 1-line block ×4, first 2 shown]
	ds_load_b32 v143, v74
	ds_load_b32 v141, v49 offset:6912
	s_and_saveexec_b32 s1, vcc_lo
	s_cbranch_execz .LBB0_15
; %bb.14:
	v_lshlrev_b32_e32 v30, 2, v75
	v_add_nc_u32_e32 v31, 0xe0, v49
	s_delay_alu instid0(VALU_DEP_2) | instskip(NEXT) | instid1(VALU_DEP_1)
	v_lshl_add_u32 v30, v62, 2, v30
	v_add_nc_u32_e32 v30, 0xe0, v30
	ds_load_2addr_stride64_b32 v[34:35], v31 offset0:1 offset1:16
	ds_load_2addr_stride64_b32 v[36:37], v30 offset0:4 offset1:7
	;; [unrolled: 1-line block ×5, first 2 shown]
	s_wait_dscnt 0x4
	v_lshrrev_b32_e32 v135, 16, v34
	v_lshrrev_b32_e32 v137, 16, v35
	s_wait_dscnt 0x3
	v_lshrrev_b32_e32 v136, 16, v36
	v_lshrrev_b32_e32 v139, 16, v37
	;; [unrolled: 3-line block ×5, first 2 shown]
.LBB0_15:
	s_wait_alu 0xfffe
	s_or_b32 exec_lo, exec_lo, s1
	s_wait_dscnt 0x3
	v_add_f16_e64 v142, v45, v43
	v_lshrrev_b32_e32 v144, 16, v47
	s_wait_dscnt 0x2
	v_lshrrev_b32_e32 v145, 16, v41
	v_lshrrev_b32_e32 v146, 16, v45
	;; [unrolled: 1-line block ×3, first 2 shown]
	s_wait_dscnt 0x1
	v_fma_f16 v148, -0.5, v142, v143
	v_add_f16_e64 v142, v47, v41
	v_sub_f16_e64 v149, v144, v145
	v_sub_f16_e64 v151, v41, v43
	;; [unrolled: 1-line block ×4, first 2 shown]
	v_fma_f16 v154, -0.5, v142, v143
	v_fma_f16 v153, 0xbb9c, v149, v148
	v_fmac_f16_e64 v148, 0x3b9c, v149
	v_pk_add_f16 v142, v143, v47
	v_add_f16_e64 v151, v152, v151
	v_add_f16_e64 v157, v146, v147
	v_fmac_f16_e64 v153, 0xb8b4, v150
	v_lshrrev_b32_e32 v143, 16, v143
	v_fmac_f16_e64 v148, 0x38b4, v150
	v_fma_f16 v152, 0x3b9c, v150, v154
	v_sub_f16_e64 v155, v43, v41
	v_sub_f16_e64 v156, v45, v47
	v_fmac_f16_e64 v154, 0xbb9c, v150
	v_fma_f16 v150, -0.5, v157, v143
	v_sub_f16_e32 v47, v47, v41
	v_fmac_f16_e64 v153, 0x34f2, v151
	v_fmac_f16_e64 v148, 0x34f2, v151
	v_add_f16_e64 v151, v144, v145
	v_fmac_f16_e64 v152, 0xb8b4, v149
	v_add_f16_e64 v155, v156, v155
	v_fmac_f16_e64 v154, 0x38b4, v149
	v_fma_f16 v149, 0x3b9c, v47, v150
	v_sub_f16_e64 v156, v45, v43
	v_sub_f16_e64 v157, v144, v146
	;; [unrolled: 1-line block ×3, first 2 shown]
	v_fmac_f16_e64 v150, 0xbb9c, v47
	v_fmac_f16_e64 v143, -0.5, v151
	v_sub_f16_e64 v144, v146, v144
	v_sub_f16_e64 v145, v147, v145
	v_fmac_f16_e64 v152, 0x34f2, v155
	v_fmac_f16_e64 v154, 0x34f2, v155
	;; [unrolled: 1-line block ×3, first 2 shown]
	v_add_f16_e64 v151, v157, v158
	v_fmac_f16_e64 v150, 0xb8b4, v156
	v_fma_f16 v155, 0xbb9c, v156, v143
	v_add_f16_e64 v157, v42, v40
	v_lshrrev_b32_e32 v160, 16, v42
	v_lshrrev_b32_e32 v161, 16, v40
	v_fmac_f16_e64 v143, 0x3b9c, v156
	s_wait_dscnt 0x0
	v_sub_f16_e64 v156, v141, v40
	v_sub_f16_e64 v162, v44, v42
	v_add_f16_e64 v144, v144, v145
	v_add_f16_e64 v145, v44, v141
	v_lshrrev_b32_e32 v158, 16, v44
	v_lshrrev_b32_e32 v159, 16, v141
	v_fmac_f16_e64 v149, 0x34f2, v151
	v_fmac_f16_e64 v150, 0x34f2, v151
	;; [unrolled: 1-line block ×3, first 2 shown]
	v_fma_f16 v151, -0.5, v157, v46
	v_fmac_f16_e64 v143, 0xb8b4, v47
	v_add_f16_e64 v47, v162, v156
	v_fma_f16 v145, -0.5, v145, v46
	v_pk_add_f16 v156, v46, v44
	v_add_f16_e64 v162, v160, v161
	v_lshrrev_b32_e32 v46, 16, v46
	v_sub_f16_e64 v163, v40, v141
	v_sub_f16_e64 v164, v42, v44
	v_add_f16_e64 v165, v158, v159
	v_sub_f16_e64 v44, v44, v141
	v_fma_f16 v162, -0.5, v162, v46
	v_sub_f16_e64 v157, v158, v159
	v_add_f16_e64 v163, v164, v163
	v_sub_f16_e64 v164, v42, v40
	v_fmac_f16_e64 v46, -0.5, v165
	v_fma_f16 v165, 0x3b9c, v44, v162
	v_sub_f16_e64 v166, v158, v160
	v_sub_f16_e64 v167, v159, v161
	v_fma_f16 v146, 0xbb9c, v157, v151
	v_sub_f16_e64 v147, v160, v161
	v_fma_f16 v168, 0xbb9c, v164, v46
	v_sub_f16_e64 v158, v160, v158
	v_sub_f16_e64 v159, v161, v159
	v_fmac_f16_e64 v46, 0x3b9c, v164
	v_fmac_f16_e64 v165, 0x38b4, v164
	v_add_f16_e64 v160, v166, v167
	v_fmac_f16_e64 v162, 0xbb9c, v44
	v_fmac_f16_e64 v146, 0xb8b4, v147
	;; [unrolled: 1-line block ×5, first 2 shown]
	v_fma_f16 v144, 0x3b9c, v147, v145
	v_fmac_f16_e64 v145, 0xbb9c, v147
	v_fmac_f16_e64 v168, 0x38b4, v44
	v_add_f16_e64 v158, v158, v159
	v_fmac_f16_e32 v46, 0xb8b4, v44
	v_fmac_f16_e64 v165, 0x34f2, v160
	v_fmac_f16_e64 v162, 0xb8b4, v164
	;; [unrolled: 1-line block ×7, first 2 shown]
	v_mul_f16_e64 v44, 0xb8b4, v165
	v_fmac_f16_e64 v151, 0x38b4, v147
	v_fmac_f16_e64 v162, 0x34f2, v160
	;; [unrolled: 1-line block ×4, first 2 shown]
	v_mul_f16_e64 v157, 0xbb9c, v168
	v_mul_f16_e64 v158, 0xbb9c, v46
	v_fmac_f16_e64 v44, 0x3a79, v146
	v_fmac_f16_e64 v151, 0x34f2, v47
	v_mul_f16_e64 v47, 0xb8b4, v162
	v_mul_f16_e64 v146, 0x38b4, v146
	;; [unrolled: 1-line block ×3, first 2 shown]
	v_mul_f16_e32 v46, 0xb4f2, v46
	v_fmac_f16_e64 v157, 0x34f2, v144
	v_add_f16_e64 v159, v153, v44
	v_mul_f16_e64 v162, 0xba79, v162
	v_fmac_f16_e64 v47, 0xba79, v151
	v_fmac_f16_e64 v146, 0x3a79, v165
	;; [unrolled: 1-line block ×4, first 2 shown]
	v_sub_f16_e64 v153, v153, v44
	v_add_f16_e32 v44, v37, v34
	v_add_f16_e64 v144, v32, v39
	v_add_f16_e64 v160, v152, v157
	v_fmac_f16_e64 v162, 0x38b4, v151
	v_add_f16_e64 v151, v148, v47
	v_add_f16_e64 v163, v149, v146
	;; [unrolled: 1-line block ×4, first 2 shown]
	v_sub_f16_e64 v152, v152, v157
	v_sub_f16_e64 v157, v148, v47
	v_add_f16_e32 v47, v39, v44
	v_fma_f16 v44, -0.5, v144, v34
	v_sub_f16_e64 v144, v139, v91
	v_sub_f16_e64 v148, v149, v146
	;; [unrolled: 1-line block ×4, first 2 shown]
	v_add_f16_e64 v143, v30, v37
	v_fmac_f16_e64 v158, 0xb4f2, v145
	v_fma_f16 v46, 0xbb9c, v144, v44
	v_sub_f16_e64 v145, v140, v134
	v_sub_f16_e64 v146, v37, v39
	;; [unrolled: 1-line block ×3, first 2 shown]
	v_fmac_f16_e64 v34, -0.5, v143
	v_fmac_f16_e64 v44, 0x3b9c, v144
	v_add_f16_e64 v161, v154, v158
	v_sub_f16_e64 v154, v154, v158
	v_fmac_f16_e64 v46, 0xb8b4, v145
	v_add_f16_e64 v146, v147, v146
	v_fma_f16 v158, 0x3b9c, v145, v34
	v_fmac_f16_e64 v44, 0x38b4, v145
	v_fmac_f16_e64 v34, 0xbb9c, v145
	v_add_f16_e64 v145, v139, v135
	v_add_f16_e64 v166, v150, v162
	v_add_f16_e32 v47, v32, v47
	v_sub_f16_e64 v150, v150, v162
	v_sub_f16_e64 v143, v39, v37
	;; [unrolled: 1-line block ×3, first 2 shown]
	v_fmac_f16_e64 v46, 0x34f2, v146
	v_add_f16_e64 v162, v134, v140
	v_fmac_f16_e64 v158, 0xb8b4, v144
	v_fmac_f16_e64 v44, 0x34f2, v146
	;; [unrolled: 1-line block ×3, first 2 shown]
	v_add_f16_e64 v144, v140, v145
	v_add_f16_e64 v146, v91, v139
	v_add_f16_e32 v47, v30, v47
	v_add_f16_e64 v147, v147, v143
	v_fma_f16 v143, -0.5, v162, v135
	v_sub_f16_e32 v30, v37, v30
	v_sub_f16_e32 v32, v39, v32
	v_sub_f16_e64 v39, v139, v140
	v_sub_f16_e64 v145, v91, v134
	v_add_f16_e64 v144, v134, v144
	v_fmac_f16_e64 v135, -0.5, v146
	v_fma_f16 v37, 0x3b9c, v30, v143
	v_fmac_f16_e64 v143, 0xbb9c, v30
	v_add_f16_e64 v145, v145, v39
	v_add_f16_e64 v39, v91, v144
	;; [unrolled: 1-line block ×3, first 2 shown]
	v_fma_f16 v162, 0xbb9c, v32, v135
	v_sub_f16_e64 v139, v140, v139
	v_sub_f16_e64 v91, v134, v91
	v_add_f16_e64 v134, v38, v36
	v_fmac_f16_e64 v135, 0x3b9c, v32
	v_fmac_f16_e32 v37, 0x38b4, v32
	v_fmac_f16_e64 v143, 0xb8b4, v32
	v_fma_f16 v167, -0.5, v144, v36
	v_sub_f16_e64 v140, v138, v89
	v_fmac_f16_e64 v162, 0x38b4, v30
	v_add_f16_e64 v91, v91, v139
	v_add_f16_e64 v32, v35, v134
	v_fmac_f16_e64 v135, 0xb8b4, v30
	v_add_f16_e32 v30, v31, v38
	v_fmac_f16_e64 v37, 0x34f2, v145
	v_fmac_f16_e64 v143, 0x34f2, v145
	v_fma_f16 v134, 0xbb9c, v140, v167
	v_sub_f16_e64 v144, v137, v133
	v_sub_f16_e64 v139, v38, v35
	;; [unrolled: 1-line block ×3, first 2 shown]
	v_add_f16_e32 v32, v33, v32
	v_fmac_f16_e64 v162, 0x34f2, v91
	v_fmac_f16_e32 v36, -0.5, v30
	v_fmac_f16_e64 v135, 0x34f2, v91
	v_fmac_f16_e64 v167, 0x3b9c, v140
	v_sub_f16_e32 v30, v35, v38
	v_sub_f16_e32 v91, v33, v31
	v_fmac_f16_e64 v134, 0xb8b4, v144
	v_add_f16_e64 v145, v145, v139
	v_add_f16_e64 v139, v31, v32
	v_fma_f16 v32, 0x3b9c, v144, v36
	v_fmac_f16_e64 v36, 0xbb9c, v144
	v_fmac_f16_e64 v167, 0x38b4, v144
	v_add_f16_e64 v144, v133, v137
	v_add_f16_e32 v30, v91, v30
	v_add_f16_e64 v91, v89, v138
	v_fmac_f16_e64 v158, 0x34f2, v147
	v_fmac_f16_e64 v34, 0x34f2, v147
	;; [unrolled: 1-line block ×4, first 2 shown]
	v_add_f16_e64 v140, v138, v136
	v_fma_f16 v147, -0.5, v144, v136
	v_sub_f16_e32 v33, v35, v33
	v_fmac_f16_e64 v136, -0.5, v91
	v_sub_f16_e32 v31, v38, v31
	v_fmac_f16_e32 v32, 0x34f2, v30
	v_fmac_f16_e32 v36, 0x34f2, v30
	v_sub_f16_e64 v30, v137, v138
	v_fma_f16 v91, 0xbb9c, v33, v136
	v_sub_f16_e64 v38, v133, v89
	v_fmac_f16_e64 v136, 0x3b9c, v33
	v_fma_f16 v35, 0x3b9c, v31, v147
	v_sub_f16_e64 v138, v138, v137
	v_sub_f16_e64 v144, v89, v133
	v_add_f16_e32 v30, v38, v30
	v_fmac_f16_e64 v136, 0xb8b4, v31
	v_fmac_f16_e32 v91, 0x38b4, v31
	v_fmac_f16_e32 v35, 0x38b4, v33
	v_fmac_f16_e64 v147, 0xbb9c, v31
	v_add_f16_e64 v31, v144, v138
	v_fmac_f16_e64 v136, 0x34f2, v30
	v_fmac_f16_e64 v134, 0x34f2, v145
	;; [unrolled: 1-line block ×4, first 2 shown]
	v_fmac_f16_e32 v35, 0x34f2, v31
	v_mul_f16_e64 v138, 0xbb9c, v136
	v_mul_f16_e64 v146, 0xb4f2, v136
	v_fmac_f16_e32 v91, 0x34f2, v30
	v_add_f16_e64 v30, v137, v140
	v_fmac_f16_e64 v147, 0x34f2, v31
	v_mul_f16_e32 v38, 0xb8b4, v35
	v_fmac_f16_e64 v138, 0xb4f2, v36
	v_mul_f16_e64 v145, 0x3a79, v35
	v_fmac_f16_e64 v146, 0x3b9c, v36
	v_pk_add_f16 v35, v142, v45
	v_pk_add_f16 v36, v156, v42
	v_mul_f16_e64 v137, 0xbb9c, v91
	v_add_f16_e64 v30, v133, v30
	v_mul_f16_e64 v144, 0xb8b4, v147
	v_mul_f16_e64 v168, 0x34f2, v91
	;; [unrolled: 1-line block ×3, first 2 shown]
	v_pk_add_f16 v42, v35, v43
	v_pk_add_f16 v40, v36, v40
	v_fmac_f16_e64 v137, 0x34f2, v32
	v_add_f16_e64 v140, v89, v30
	v_fmac_f16_e64 v38, 0x3a79, v134
	v_fmac_f16_e64 v144, 0xba79, v167
	;; [unrolled: 1-line block ×5, first 2 shown]
	v_pk_add_f16 v45, v42, v41
	v_pk_add_f16 v141, v40, v141
	v_add_f16_e64 v30, v158, v137
	v_add_f16_e64 v31, v34, v138
	;; [unrolled: 1-line block ×6, first 2 shown]
	v_sub_f16_e64 v33, v47, v139
	v_sub_f16_e32 v35, v46, v38
	v_sub_f16_e64 v36, v158, v137
	v_sub_f16_e64 v136, v39, v140
	;; [unrolled: 1-line block ×4, first 2 shown]
	v_pk_add_f16 v40, v45, v141
	v_pack_b32_f16 v43, v161, v165
	v_pack_b32_f16 v42, v160, v164
	;; [unrolled: 1-line block ×3, first 2 shown]
	v_pk_add_f16 v142, v45, v141 neg_lo:[0,1] neg_hi:[0,1]
	v_pack_b32_f16 v149, v152, v149
	v_pack_b32_f16 v148, v153, v148
	;; [unrolled: 1-line block ×5, first 2 shown]
	global_wb scope:SCOPE_SE
	s_barrier_signal -1
	s_barrier_wait -1
	global_inv scope:SCOPE_SE
	ds_store_2addr_b64 v78, v[40:41], v[42:43] offset1:1
	ds_store_2addr_b64 v78, v[141:142], v[148:149] offset0:2 offset1:3
	ds_store_b64 v78, v[150:151] offset:32
	s_and_saveexec_b32 s1, vcc_lo
	s_cbranch_execz .LBB0_17
; %bb.16:
	v_add_f16_e64 v40, v37, v145
	v_add_f16_e64 v39, v140, v39
	v_add_f16_e32 v41, v46, v38
	v_add_f16_e64 v42, v139, v47
	v_sub_f16_e64 v45, v143, v147
	v_sub_f16_e64 v78, v135, v146
	;; [unrolled: 1-line block ×4, first 2 shown]
	v_add_lshl_u32 v47, v75, v79, 2
	v_perm_b32 v38, v133, v31, 0x5040100
	v_perm_b32 v37, v89, v30, 0x5040100
	v_pack_b32_f16 v40, v41, v40
	v_pack_b32_f16 v39, v42, v39
	v_perm_b32 v42, v137, v36, 0x5040100
	v_perm_b32 v41, v134, v35, 0x5040100
	;; [unrolled: 1-line block ×4, first 2 shown]
	v_pack_b32_f16 v46, v135, v45
	v_pack_b32_f16 v45, v34, v78
	ds_store_2addr_b64 v47, v[39:40], v[37:38] offset1:1
	ds_store_2addr_b64 v47, v[43:44], v[41:42] offset0:2 offset1:3
	ds_store_b64 v47, v[45:46] offset:32
.LBB0_17:
	s_wait_alu 0xfffe
	s_or_b32 exec_lo, exec_lo, s1
	v_add_nc_u32_e32 v34, 0x180, v49
	v_add_nc_u32_e32 v39, 0x680, v49
	;; [unrolled: 1-line block ×5, first 2 shown]
	global_wb scope:SCOPE_SE
	s_wait_dscnt 0x0
	s_barrier_signal -1
	s_barrier_wait -1
	global_inv scope:SCOPE_SE
	ds_load_2addr_b32 v[37:38], v34 offset0:24 offset1:224
	ds_load_2addr_b32 v[45:46], v39 offset0:24 offset1:224
	;; [unrolled: 1-line block ×5, first 2 shown]
	ds_load_b32 v79, v74
	ds_load_b32 v135, v49 offset:6880
	s_and_saveexec_b32 s1, s0
	s_cbranch_execz .LBB0_19
; %bb.18:
	v_add_nc_u32_e32 v34, 0xc0, v49
	ds_load_2addr_stride64_b32 v[30:31], v34 offset0:3 offset1:8
	ds_load_2addr_stride64_b32 v[32:33], v34 offset0:13 offset1:18
	;; [unrolled: 1-line block ×3, first 2 shown]
	s_wait_dscnt 0x2
	v_lshrrev_b32_e32 v89, 16, v30
	v_lshrrev_b32_e32 v133, 16, v31
	s_wait_dscnt 0x1
	v_lshrrev_b32_e32 v91, 16, v32
	v_lshrrev_b32_e32 v136, 16, v33
	;; [unrolled: 3-line block ×3, first 2 shown]
.LBB0_19:
	s_wait_alu 0xfffe
	s_or_b32 exec_lo, exec_lo, s1
	s_wait_dscnt 0x6
	v_lshrrev_b32_e32 v139, 16, v38
	s_wait_dscnt 0x5
	v_lshrrev_b32_e32 v140, 16, v46
	;; [unrolled: 2-line block ×5, first 2 shown]
	v_mul_f16_e64 v148, v101, v139
	v_mul_f16_e64 v151, v100, v140
	v_mul_f16_e32 v101, v101, v38
	v_lshrrev_b32_e32 v145, 16, v45
	v_lshrrev_b32_e32 v146, 16, v43
	v_fmac_f16_e64 v148, v8, v38
	v_mul_f16_e32 v38, v100, v46
	v_mul_f16_e64 v100, v99, v141
	v_fmac_f16_e64 v151, v9, v46
	v_mul_f16_e32 v46, v99, v44
	v_lshrrev_b32_e32 v147, 16, v41
	v_fma_f16 v9, v9, v140, -v38
	v_mul_f16_e64 v38, v98, v142
	v_fmac_f16_e32 v100, v10, v44
	v_mul_f16_e32 v44, v98, v42
	v_fma_f16 v10, v10, v141, -v46
	v_mul_f16_e64 v46, v97, v143
	v_fmac_f16_e32 v38, v11, v42
	v_mul_f16_e32 v42, v97, v40
	;; [unrolled: 4-line block ×3, first 2 shown]
	v_lshrrev_b32_e32 v149, 16, v39
	v_fma_f16 v42, v82, v143, -v42
	v_mul_f16_e64 v82, v95, v146
	v_fmac_f16_e32 v44, v4, v45
	v_mul_f16_e32 v45, v95, v43
	v_fma_f16 v4, v4, v145, -v40
	v_mul_f16_e64 v40, v94, v147
	s_wait_dscnt 0x0
	v_lshrrev_b32_e32 v150, 16, v135
	v_fmac_f16_e32 v82, v5, v43
	v_mul_f16_e32 v43, v94, v41
	v_fma_f16 v5, v5, v146, -v45
	v_mul_f16_e64 v45, v93, v149
	v_fmac_f16_e32 v40, v6, v41
	v_mul_f16_e32 v41, v93, v39
	v_fma_f16 v6, v6, v147, -v43
	v_mul_f16_e64 v43, v92, v150
	v_fmac_f16_e32 v45, v7, v39
	v_mul_f16_e64 v39, v92, v135
	v_fma_f16 v7, v7, v149, -v41
	v_add_f16_e64 v41, v151, v38
	v_lshrrev_b32_e32 v138, 16, v79
	v_fmac_f16_e64 v43, v80, v135
	v_add_f16_e64 v92, v79, v151
	v_fma_f16 v39, v80, v150, -v39
	v_add_f16_e32 v80, v9, v11
	v_fmac_f16_e32 v79, -0.5, v41
	v_sub_f16_e32 v41, v9, v11
	v_fma_f16 v8, v8, v139, -v101
	v_add_f16_e64 v9, v138, v9
	v_fmac_f16_e64 v138, -0.5, v80
	v_add_f16_e32 v92, v92, v38
	v_fmamk_f16 v80, v41, 0xbaee, v79
	v_fmac_f16_e32 v79, 0x3aee, v41
	v_add_f16_e32 v41, v10, v42
	v_sub_f16_e64 v38, v151, v38
	v_add_f16_e32 v93, v100, v46
	v_add_f16_e32 v94, v8, v10
	v_add_f16_e32 v9, v9, v11
	v_fmac_f16_e32 v8, -0.5, v41
	v_sub_f16_e32 v41, v100, v46
	v_fma_f16 v11, 0x3aee, v38, v138
	v_add_f16_e64 v95, v148, v100
	v_fmac_f16_e64 v148, -0.5, v93
	v_sub_f16_e32 v10, v10, v42
	v_fmac_f16_e64 v138, 0xbaee, v38
	v_fmamk_f16 v38, v41, 0x3aee, v8
	v_fmac_f16_e32 v8, 0xbaee, v41
	v_add_f16_e32 v41, v95, v46
	v_fma_f16 v46, 0xbaee, v10, v148
	v_fmac_f16_e64 v148, 0x3aee, v10
	v_mul_f16_e32 v10, 0xbaee, v38
	v_add_f16_e32 v42, v94, v42
	v_mul_f16_e32 v38, 0.5, v38
	v_lshrrev_b32_e32 v144, 16, v37
	v_add_f16_e32 v94, v92, v41
	v_fmac_f16_e32 v10, 0.5, v46
	v_add_f16_e32 v96, v9, v42
	v_fmac_f16_e32 v38, 0x3aee, v46
	v_sub_f16_e32 v9, v9, v42
	v_add_f16_e32 v42, v82, v45
	v_add_f16_e32 v46, v80, v10
	v_sub_f16_e32 v10, v80, v10
	v_add_f16_e32 v97, v11, v38
	v_sub_f16_e32 v11, v11, v38
	v_add_f16_e32 v38, v37, v82
	v_add_f16_e32 v80, v5, v7
	v_fmac_f16_e32 v37, -0.5, v42
	v_sub_f16_e32 v42, v5, v7
	v_add_f16_e64 v5, v144, v5
	v_sub_f16_e32 v41, v92, v41
	v_fmac_f16_e64 v144, -0.5, v80
	v_add_f16_e32 v38, v38, v45
	v_fmamk_f16 v80, v42, 0xbaee, v37
	v_fmac_f16_e32 v37, 0x3aee, v42
	v_add_f16_e32 v42, v6, v39
	v_sub_f16_e32 v45, v82, v45
	v_add_f16_e32 v82, v40, v43
	v_add_f16_e32 v92, v4, v6
	;; [unrolled: 1-line block ×3, first 2 shown]
	v_fmac_f16_e32 v4, -0.5, v42
	v_sub_f16_e32 v42, v40, v43
	v_fma_f16 v7, 0x3aee, v45, v144
	v_add_f16_e32 v40, v44, v40
	v_fmac_f16_e32 v44, -0.5, v82
	v_sub_f16_e32 v6, v6, v39
	v_fmac_f16_e64 v144, 0xbaee, v45
	v_fmamk_f16 v45, v42, 0x3aee, v4
	v_fmac_f16_e32 v4, 0xbaee, v42
	v_mul_f16_e32 v93, 0xbaee, v8
	v_mul_f16_e32 v8, -0.5, v8
	v_fmamk_f16 v42, v6, 0xbaee, v44
	v_fmac_f16_e32 v44, 0x3aee, v6
	v_mul_f16_e32 v6, 0xbaee, v45
	v_mul_f16_e32 v45, 0.5, v45
	v_add_f16_e32 v40, v40, v43
	v_mul_f16_e32 v43, 0xbaee, v4
	v_mul_f16_e32 v4, -0.5, v4
	v_fmac_f16_e64 v93, -0.5, v148
	v_fmac_f16_e64 v8, 0x3aee, v148
	v_add_f16_e32 v39, v92, v39
	v_fmac_f16_e32 v6, 0.5, v42
	v_fmac_f16_e32 v45, 0x3aee, v42
	v_fmac_f16_e32 v43, -0.5, v44
	v_fmac_f16_e32 v4, 0x3aee, v44
	v_add_f16_e32 v95, v79, v93
	v_add_f16_e64 v98, v138, v8
	v_add_f16_e32 v82, v38, v40
	v_add_f16_e32 v92, v5, v39
	v_sub_f16_e32 v38, v38, v40
	v_sub_f16_e32 v5, v5, v39
	v_pack_b32_f16 v39, v94, v96
	v_pack_b32_f16 v40, v46, v97
	v_sub_f16_e32 v79, v79, v93
	v_sub_f16_e64 v8, v138, v8
	v_add_f16_e32 v42, v80, v6
	v_add_f16_e32 v93, v7, v45
	v_add_f16_e32 v44, v37, v43
	v_add_f16_e64 v99, v144, v4
	v_sub_f16_e32 v6, v80, v6
	v_sub_f16_e32 v37, v37, v43
	;; [unrolled: 1-line block ×3, first 2 shown]
	v_sub_f16_e64 v4, v144, v4
	v_add_nc_u32_e32 v34, 0x780, v49
	v_add_nc_u32_e32 v47, 0xb40, v49
	v_add_nc_u32_e32 v78, 0xd20, v49
	global_wb scope:SCOPE_SE
	s_barrier_signal -1
	s_barrier_wait -1
	global_inv scope:SCOPE_SE
	ds_store_2addr_b32 v86, v39, v40 offset1:10
	v_pack_b32_f16 v39, v95, v98
	v_pack_b32_f16 v9, v41, v9
	;; [unrolled: 1-line block ×10, first 2 shown]
	ds_store_2addr_b32 v86, v39, v9 offset0:20 offset1:30
	ds_store_2addr_b32 v86, v10, v8 offset0:40 offset1:50
	ds_store_2addr_b32 v85, v11, v40 offset1:10
	ds_store_2addr_b32 v85, v41, v5 offset0:20 offset1:30
	ds_store_2addr_b32 v85, v6, v4 offset0:40 offset1:50
	s_and_saveexec_b32 s1, s0
	s_cbranch_execz .LBB0_21
; %bb.20:
	v_mul_f16_e32 v7, v88, v33
	v_mul_f16_e32 v8, v87, v36
	;; [unrolled: 1-line block ×4, first 2 shown]
	v_mul_f16_e64 v6, v88, v136
	v_mul_f16_e64 v9, v87, v137
	v_mul_f16_e32 v10, v84, v31
	v_fma_f16 v7, v2, v136, -v7
	v_fma_f16 v8, v76, v137, -v8
	;; [unrolled: 1-line block ×4, first 2 shown]
	v_mul_f16_e64 v37, v84, v133
	v_fmac_f16_e32 v6, v2, v33
	v_fmac_f16_e32 v9, v76, v36
	v_fma_f16 v2, v0, v133, -v10
	v_add_f16_e32 v10, v8, v7
	v_mul_f16_e32 v33, v81, v91
	v_mul_f16_e64 v36, v83, v134
	v_add_f16_e32 v11, v5, v4
	v_fmac_f16_e32 v37, v0, v31
	v_fma_f16 v10, -0.5, v10, v2
	v_sub_f16_e32 v31, v6, v9
	v_fmac_f16_e32 v33, v1, v32
	v_fmac_f16_e32 v36, v3, v35
	v_add_f16_e32 v0, v9, v6
	v_fma_f16 v11, -0.5, v11, v89
	v_fmamk_f16 v3, v31, 0xbaee, v10
	v_fmac_f16_e32 v10, 0x3aee, v31
	v_sub_f16_e32 v31, v33, v36
	v_fma_f16 v0, -0.5, v0, v37
	v_sub_f16_e32 v1, v7, v8
	v_add_f16_e32 v41, v4, v89
	v_add_f16_e32 v2, v7, v2
	v_fmamk_f16 v38, v31, 0xbaee, v11
	v_fmac_f16_e32 v11, 0x3aee, v31
	v_add_f16_e32 v31, v36, v33
	v_fmamk_f16 v32, v1, 0x3aee, v0
	v_fmac_f16_e32 v0, 0xbaee, v1
	v_mul_f16_e32 v1, 0.5, v10
	v_sub_f16_e32 v4, v4, v5
	v_fma_f16 v7, -0.5, v31, v30
	v_mul_f16_e32 v10, 0xbaee, v10
	v_add_f16_e32 v2, v8, v2
	v_fmac_f16_e32 v1, 0x3aee, v0
	v_mul_f16_e32 v35, -0.5, v3
	v_fmamk_f16 v8, v4, 0x3aee, v7
	v_fmac_f16_e32 v7, 0xbaee, v4
	v_fmac_f16_e32 v10, 0.5, v0
	v_add_f16_e32 v0, v33, v30
	v_add_f16_e32 v4, v6, v37
	v_mul_f16_e32 v3, 0xbaee, v3
	v_add_f16_e32 v5, v5, v41
	v_fmac_f16_e32 v35, 0x3aee, v32
	v_add_f16_e32 v0, v36, v0
	v_add_f16_e32 v4, v9, v4
	v_fmac_f16_e32 v3, -0.5, v32
	v_sub_f16_e32 v40, v11, v1
	v_sub_f16_e32 v6, v5, v2
	;; [unrolled: 1-line block ×3, first 2 shown]
	v_add_f16_e32 v1, v11, v1
	v_add_f16_e32 v2, v5, v2
	v_and_b32_e32 v5, 0xffff, v77
	v_add_f16_e32 v11, v0, v4
	v_add_f16_e32 v7, v7, v10
	v_sub_f16_e32 v30, v8, v3
	v_add_f16_e32 v9, v38, v35
	v_add_f16_e32 v3, v8, v3
	v_sub_f16_e32 v0, v0, v4
	v_sub_f16_e32 v39, v38, v35
	v_add_lshl_u32 v4, v75, v5, 2
	v_pack_b32_f16 v2, v11, v2
	v_pack_b32_f16 v1, v7, v1
	;; [unrolled: 1-line block ×6, first 2 shown]
	ds_store_2addr_b32 v4, v2, v1 offset1:10
	ds_store_2addr_b32 v4, v3, v0 offset0:20 offset1:30
	ds_store_2addr_b32 v4, v5, v6 offset0:40 offset1:50
.LBB0_21:
	s_wait_alu 0xfffe
	s_or_b32 exec_lo, exec_lo, s1
	global_wb scope:SCOPE_SE
	s_wait_dscnt 0x0
	s_barrier_signal -1
	s_barrier_wait -1
	global_inv scope:SCOPE_SE
	v_add_nc_u32_e32 v2, 0x400, v49
	ds_load_b32 v37, v74
	ds_load_2addr_b32 v[4:5], v49 offset0:120 offset1:240
	v_add_nc_u32_e32 v0, 0x800, v49
	v_add_nc_u32_e32 v1, 0xc00, v49
	;; [unrolled: 1-line block ×3, first 2 shown]
	ds_load_2addr_b32 v[6:7], v2 offset0:104 offset1:224
	v_add_nc_u32_e32 v38, 0x1400, v49
	ds_load_2addr_b32 v[8:9], v0 offset0:88 offset1:208
	ds_load_2addr_b32 v[10:11], v1 offset0:72 offset1:192
	v_add_nc_u32_e32 v39, 0x1800, v49
	ds_load_2addr_b32 v[30:31], v3 offset0:56 offset1:176
	ds_load_2addr_b32 v[32:33], v38 offset0:40 offset1:160
	;; [unrolled: 1-line block ×3, first 2 shown]
	ds_load_b32 v40, v49 offset:7200
	global_wb scope:SCOPE_SE
	s_wait_dscnt 0x0
	s_barrier_signal -1
	s_barrier_wait -1
	global_inv scope:SCOPE_SE
	s_mov_b32 s8, 0x11111111
	s_mov_b32 s9, 0x3f411111
	v_lshrrev_b32_e32 v41, 16, v37
	v_lshrrev_b32_e32 v42, 16, v4
	;; [unrolled: 1-line block ×3, first 2 shown]
	v_mul_f16_e64 v87, v132, v4
	v_lshrrev_b32_e32 v44, 16, v6
	s_delay_alu instid0(VALU_DEP_4)
	v_mul_f16_e64 v84, v132, v42
	v_lshrrev_b32_e32 v45, 16, v7
	v_mul_f16_e64 v88, v131, v43
	v_lshrrev_b32_e32 v46, 16, v8
	v_mul_f16_e64 v89, v130, v44
	v_fmac_f16_e32 v84, v20, v4
	v_mul_f16_e64 v4, v131, v5
	v_lshrrev_b32_e32 v75, 16, v9
	v_fmac_f16_e32 v88, v21, v5
	v_mul_f16_e64 v5, v130, v6
	v_fmac_f16_e32 v89, v22, v6
	v_fma_f16 v4, v21, v43, -v4
	v_mul_f16_e64 v6, v129, v45
	v_mul_f16_e64 v21, v129, v7
	v_lshrrev_b32_e32 v76, 16, v10
	v_lshrrev_b32_e32 v77, 16, v11
	v_fma_f16 v20, v20, v42, -v87
	v_fma_f16 v5, v22, v44, -v5
	v_mul_f16_e64 v22, v128, v46
	v_mul_f16_e64 v42, v128, v8
	v_fmac_f16_e32 v6, v23, v7
	v_fma_f16 v7, v23, v45, -v21
	v_mul_f16_e32 v21, v127, v75
	v_lshrrev_b32_e32 v79, 16, v30
	v_lshrrev_b32_e32 v80, 16, v31
	v_fmac_f16_e32 v22, v16, v8
	v_fma_f16 v8, v16, v46, -v42
	v_mul_f16_e32 v16, v127, v9
	v_mul_f16_e32 v23, v126, v76
	v_fmac_f16_e32 v21, v17, v9
	v_mul_f16_e32 v9, v126, v10
	v_mul_f16_e32 v42, v124, v77
	v_lshrrev_b32_e32 v82, 16, v33
	v_fmac_f16_e32 v23, v18, v10
	v_mul_f16_e32 v10, v124, v11
	v_fma_f16 v9, v18, v76, -v9
	v_fmac_f16_e32 v42, v19, v11
	v_mul_f16_e32 v11, v123, v79
	v_mul_f16_e32 v18, v121, v80
	v_lshrrev_b32_e32 v81, 16, v32
	v_lshrrev_b32_e32 v85, 16, v36
	v_fma_f16 v16, v17, v75, -v16
	v_mul_f16_e32 v17, v123, v30
	v_fma_f16 v10, v19, v77, -v10
	v_mul_f16_e32 v19, v121, v31
	v_fmac_f16_e32 v11, v12, v30
	v_fmac_f16_e32 v18, v13, v31
	v_mul_f16_e32 v30, v117, v82
	v_mul_f16_e32 v31, v117, v33
	v_lshrrev_b32_e32 v83, 16, v35
	v_fma_f16 v12, v12, v79, -v17
	v_mul_f16_e32 v17, v118, v81
	v_fma_f16 v13, v13, v80, -v19
	v_mul_f16_e32 v19, v118, v32
	v_fmac_f16_e32 v30, v15, v33
	v_fma_f16 v15, v15, v82, -v31
	v_mul_f16_e32 v31, v113, v85
	v_mul_f16_e32 v33, v113, v36
	v_lshrrev_b32_e32 v86, 16, v40
	v_fmac_f16_e32 v17, v14, v32
	v_mul_f16_e32 v32, v114, v83
	v_fma_f16 v14, v14, v81, -v19
	v_mul_f16_e32 v19, v114, v35
	v_fmac_f16_e32 v31, v25, v36
	v_fma_f16 v25, v25, v85, -v33
	v_fmac_f16_e32 v32, v24, v35
	v_mul_f16_e32 v35, v111, v40
	v_fma_f16 v19, v24, v83, -v19
	v_mul_f16_e32 v24, v111, v86
	v_sub_f16_e32 v33, v37, v42
	v_sub_f16_e32 v10, v41, v10
	;; [unrolled: 1-line block ×8, first 2 shown]
	v_fmac_f16_e32 v24, v26, v40
	v_fma_f16 v26, v26, v86, -v35
	v_fma_f16 v35, v37, 2.0, -v33
	v_fma_f16 v36, v41, 2.0, -v10
	;; [unrolled: 1-line block ×8, first 2 shown]
	v_add_f16_e32 v15, v33, v15
	v_add_f16_e32 v25, v18, v25
	v_sub_f16_e32 v11, v84, v11
	v_sub_f16_e32 v32, v22, v32
	;; [unrolled: 1-line block ×8, first 2 shown]
	v_fma_f16 v33, v33, 2.0, -v15
	v_sub_f16_e32 v16, v4, v16
	v_sub_f16_e32 v31, v13, v31
	v_fma_f16 v18, v18, 2.0, -v25
	v_sub_f16_e32 v12, v20, v12
	v_fma_f16 v40, v84, 2.0, -v11
	;; [unrolled: 2-line block ×5, first 2 shown]
	v_fma_f16 v35, v35, 2.0, -v6
	v_fma_f16 v36, v36, 2.0, -v7
	;; [unrolled: 1-line block ×6, first 2 shown]
	v_fmamk_f16 v42, v18, 0xb9a8, v33
	v_fma_f16 v8, v8, 2.0, -v19
	v_fma_f16 v9, v9, 2.0, -v26
	v_sub_f16_e32 v22, v40, v22
	v_add_f16_e32 v19, v11, v19
	v_sub_f16_e32 v32, v12, v32
	v_sub_f16_e32 v23, v41, v23
	v_add_f16_e32 v26, v17, v26
	v_sub_f16_e32 v24, v14, v24
	v_sub_f16_e32 v37, v35, v37
	;; [unrolled: 1-line block ×3, first 2 shown]
	v_fmamk_f16 v43, v13, 0xb9a8, v10
	v_fmac_f16_e32 v42, 0x39a8, v13
	v_fma_f16 v20, v20, 2.0, -v12
	v_fma_f16 v5, v5, 2.0, -v14
	;; [unrolled: 1-line block ×10, first 2 shown]
	v_fmac_f16_e32 v43, 0xb9a8, v18
	v_fma_f16 v18, v33, 2.0, -v42
	v_fmamk_f16 v33, v25, 0x39a8, v15
	v_fmamk_f16 v36, v31, 0x39a8, v30
	v_sub_f16_e32 v8, v20, v8
	v_sub_f16_e32 v9, v5, v9
	v_add_f16_e32 v16, v6, v16
	v_fmac_f16_e32 v33, 0x39a8, v31
	v_fmac_f16_e32 v36, 0xb9a8, v25
	v_fmamk_f16 v25, v17, 0xb9a8, v11
	v_sub_f16_e32 v31, v40, v41
	v_fmamk_f16 v41, v13, 0xb9a8, v12
	v_fma_f16 v5, v5, 2.0, -v9
	v_sub_f16_e32 v21, v7, v21
	v_fmac_f16_e32 v25, 0x39a8, v13
	v_fma_f16 v13, v30, 2.0, -v36
	v_fma_f16 v30, v40, 2.0, -v31
	v_fmac_f16_e32 v41, 0xb9a8, v17
	v_fmamk_f16 v17, v26, 0x39a8, v19
	v_fmamk_f16 v40, v24, 0x39a8, v32
	v_fma_f16 v10, v10, 2.0, -v43
	v_fma_f16 v11, v11, 2.0, -v25
	v_add_f16_e32 v9, v22, v9
	v_sub_f16_e32 v23, v8, v23
	v_fma_f16 v12, v12, 2.0, -v41
	v_fmac_f16_e32 v17, 0x39a8, v24
	v_fmac_f16_e32 v40, 0xb9a8, v26
	v_fma_f16 v20, v20, 2.0, -v8
	v_fma_f16 v6, v6, 2.0, -v16
	;; [unrolled: 1-line block ×6, first 2 shown]
	v_sub_f16_e32 v24, v14, v30
	v_fma_f16 v19, v19, 2.0, -v17
	v_fmamk_f16 v26, v11, 0xbb64, v18
	v_fma_f16 v30, v32, 2.0, -v40
	v_fmamk_f16 v32, v12, 0xbb64, v10
	v_sub_f16_e32 v5, v20, v5
	v_fmamk_f16 v44, v8, 0xb9a8, v7
	v_fmac_f16_e32 v26, 0x361f, v12
	v_fmamk_f16 v12, v22, 0xb9a8, v6
	v_fmac_f16_e32 v32, 0xb61f, v11
	v_fmamk_f16 v11, v19, 0xb61f, v15
	v_fma_f16 v20, v20, 2.0, -v5
	v_fmac_f16_e32 v44, 0xb9a8, v22
	v_fmac_f16_e32 v12, 0x39a8, v8
	v_fmamk_f16 v8, v30, 0xb61f, v13
	v_fmac_f16_e32 v11, 0x3b64, v30
	v_add_f16_e32 v5, v37, v5
	v_fmamk_f16 v22, v25, 0x361f, v42
	v_fmamk_f16 v30, v41, 0x361f, v43
	v_sub_f16_e32 v20, v35, v20
	v_fmac_f16_e32 v8, 0xbb64, v19
	v_sub_f16_e32 v19, v4, v31
	v_fma_f16 v31, v37, 2.0, -v5
	v_fmac_f16_e32 v22, 0x3b64, v41
	v_fmac_f16_e32 v30, 0xbb64, v25
	v_fmamk_f16 v25, v9, 0x39a8, v16
	v_fmamk_f16 v37, v23, 0x39a8, v21
	;; [unrolled: 1-line block ×4, first 2 shown]
	v_fma_f16 v14, v14, 2.0, -v24
	v_fma_f16 v35, v35, 2.0, -v20
	v_fma_f16 v18, v18, 2.0, -v26
	v_fma_f16 v10, v10, 2.0, -v32
	v_fmac_f16_e32 v25, 0x39a8, v23
	v_fmac_f16_e32 v37, 0xb9a8, v9
	;; [unrolled: 1-line block ×4, first 2 shown]
	v_fma_f16 v6, v6, 2.0, -v12
	v_fma_f16 v7, v7, 2.0, -v44
	;; [unrolled: 1-line block ×11, first 2 shown]
	v_pack_b32_f16 v14, v14, v35
	v_pack_b32_f16 v10, v18, v10
	;; [unrolled: 1-line block ×6, first 2 shown]
	v_add_nc_u32_e32 v13, 0x200, v90
	ds_store_2addr_b32 v90, v14, v10 offset1:60
	ds_store_2addr_b32 v90, v6, v7 offset0:120 offset1:180
	ds_store_2addr_b32 v13, v4, v9 offset0:112 offset1:172
	v_pack_b32_f16 v4, v16, v17
	v_pack_b32_f16 v6, v21, v23
	v_add_nc_u32_e32 v7, 0x400, v90
	v_pack_b32_f16 v9, v24, v20
	v_pack_b32_f16 v10, v26, v32
	v_add_nc_u32_e32 v13, 0x600, v90
	;; [unrolled: 3-line block ×5, first 2 shown]
	ds_store_2addr_b32 v7, v4, v6 offset0:104 offset1:164
	ds_store_2addr_b32 v13, v9, v10 offset0:96 offset1:156
	;; [unrolled: 1-line block ×5, first 2 shown]
	global_wb scope:SCOPE_SE
	s_wait_dscnt 0x0
	s_barrier_signal -1
	s_barrier_wait -1
	global_inv scope:SCOPE_SE
	ds_load_b32 v18, v74
	ds_load_2addr_b32 v[4:5], v1 offset0:72 offset1:192
	ds_load_2addr_b32 v[6:7], v49 offset0:120 offset1:240
	;; [unrolled: 1-line block ×7, first 2 shown]
	ds_load_b32 v19, v49 offset:7200
	s_wait_dscnt 0x8
	v_lshrrev_b32_e32 v20, 16, v18
	s_wait_dscnt 0x7
	v_lshrrev_b32_e32 v21, 16, v5
	v_mul_f16_e32 v39, v125, v5
	s_wait_dscnt 0x5
	v_lshrrev_b32_e32 v23, 16, v8
	v_lshrrev_b32_e32 v25, 16, v9
	s_wait_dscnt 0x3
	v_lshrrev_b32_e32 v30, 16, v12
	v_mul_f16_e32 v38, v125, v21
	v_lshrrev_b32_e32 v32, 16, v13
	v_mul_f16_e32 v41, v122, v23
	s_wait_dscnt 0x1
	v_lshrrev_b32_e32 v35, 16, v16
	v_mul_f16_e32 v43, v119, v30
	v_fmac_f16_e32 v38, v107, v5
	v_fma_f16 v5, v107, v21, -v39
	v_mul_f16_e32 v21, v122, v8
	v_lshrrev_b32_e32 v37, 16, v17
	v_fmac_f16_e32 v41, v102, v8
	v_mul_f16_e32 v8, v120, v25
	v_mul_f16_e32 v39, v120, v9
	v_fma_f16 v21, v102, v23, -v21
	v_mul_f16_e32 v23, v119, v12
	v_fmac_f16_e32 v43, v108, v12
	v_mul_f16_e32 v12, v116, v32
	s_wait_dscnt 0x0
	v_lshrrev_b32_e32 v42, 16, v19
	v_fmac_f16_e32 v8, v105, v9
	v_fma_f16 v9, v105, v25, -v39
	v_fma_f16 v23, v108, v30, -v23
	v_mul_f16_e32 v25, v116, v13
	v_mul_f16_e32 v30, v115, v35
	;; [unrolled: 1-line block ×3, first 2 shown]
	v_fmac_f16_e32 v12, v103, v13
	v_mul_f16_e32 v13, v112, v37
	v_lshrrev_b32_e32 v22, 16, v6
	v_lshrrev_b32_e32 v24, 16, v7
	v_lshrrev_b32_e32 v26, 16, v10
	v_lshrrev_b32_e32 v31, 16, v11
	v_fma_f16 v25, v103, v32, -v25
	v_fmac_f16_e32 v30, v109, v16
	v_fma_f16 v16, v109, v35, -v39
	v_mul_f16_e32 v32, v112, v17
	v_fmac_f16_e32 v13, v104, v17
	v_mul_f16_e32 v17, v110, v42
	v_mul_f16_e32 v35, v110, v19
	v_sub_f16_e32 v38, v18, v38
	v_sub_f16_e32 v5, v20, v5
	v_fma_f16 v32, v104, v37, -v32
	v_fmac_f16_e32 v17, v106, v19
	v_fma_f16 v19, v106, v42, -v35
	v_sub_f16_e32 v35, v6, v41
	v_sub_f16_e32 v21, v22, v21
	;; [unrolled: 1-line block ×8, first 2 shown]
	v_fma_f16 v18, v18, 2.0, -v38
	v_fma_f16 v20, v20, 2.0, -v5
	v_lshrrev_b32_e32 v33, 16, v14
	v_lshrrev_b32_e32 v36, 16, v15
	;; [unrolled: 1-line block ×3, first 2 shown]
	v_fma_f16 v6, v6, 2.0, -v35
	v_fma_f16 v22, v22, 2.0, -v21
	;; [unrolled: 1-line block ×8, first 2 shown]
	v_pack_b32_f16 v18, v18, v20
	v_sub_f16_e32 v30, v14, v30
	v_sub_f16_e32 v16, v33, v16
	;; [unrolled: 1-line block ×6, first 2 shown]
	v_pack_b32_f16 v6, v6, v22
	v_pack_b32_f16 v7, v7, v24
	;; [unrolled: 1-line block ×5, first 2 shown]
	ds_store_b32 v74, v18
	v_pack_b32_f16 v18, v35, v21
	v_fma_f16 v14, v14, 2.0, -v30
	v_fma_f16 v33, v33, 2.0, -v16
	;; [unrolled: 1-line block ×6, first 2 shown]
	ds_store_2addr_b32 v49, v6, v7 offset0:120 offset1:240
	ds_store_2addr_b32 v3, v18, v8 offset0:56 offset1:176
	v_pack_b32_f16 v3, v37, v23
	ds_store_2addr_b32 v2, v9, v10 offset0:104 offset1:224
	v_pack_b32_f16 v2, v30, v16
	v_add_nc_u32_e32 v6, 0x1480, v49
	v_pack_b32_f16 v8, v14, v33
	v_pack_b32_f16 v9, v15, v20
	v_pack_b32_f16 v5, v38, v5
	v_pack_b32_f16 v4, v4, v36
	v_pack_b32_f16 v7, v12, v25
	ds_store_2addr_b32 v6, v3, v2 offset0:8 offset1:248
	v_pack_b32_f16 v2, v13, v32
	v_pack_b32_f16 v3, v17, v19
	ds_store_2addr_b32 v0, v8, v9 offset0:88 offset1:208
	ds_store_2addr_b32 v1, v4, v5 offset0:72 offset1:192
	ds_store_b32 v34, v7 offset:3840
	ds_store_b32 v47, v2 offset:3840
	;; [unrolled: 1-line block ×3, first 2 shown]
	global_wb scope:SCOPE_SE
	s_wait_dscnt 0x0
	s_barrier_signal -1
	s_barrier_wait -1
	global_inv scope:SCOPE_SE
	ds_load_b32 v0, v74
	ds_load_b32 v2, v49 offset:6912
	ds_load_2addr_stride64_b32 v[5:6], v49 offset0:3 offset1:6
	s_wait_dscnt 0x2
	v_lshrrev_b32_e32 v1, 16, v0
	s_wait_dscnt 0x0
	v_lshrrev_b32_e32 v9, 16, v5
	s_delay_alu instid0(VALU_DEP_2) | instskip(NEXT) | instid1(VALU_DEP_2)
	v_mul_f16_e32 v3, v73, v1
	v_mul_f16_e32 v8, v72, v9
	s_delay_alu instid0(VALU_DEP_2) | instskip(SKIP_1) | instid1(VALU_DEP_3)
	v_fmac_f16_e32 v3, v70, v0
	v_mul_f16_e32 v0, v73, v0
	v_fmac_f16_e32 v8, v69, v5
	v_mul_f16_e32 v5, v72, v5
	s_delay_alu instid0(VALU_DEP_4) | instskip(NEXT) | instid1(VALU_DEP_4)
	v_cvt_f32_f16_e32 v3, v3
	v_fma_f16 v0, v70, v1, -v0
	s_delay_alu instid0(VALU_DEP_3) | instskip(NEXT) | instid1(VALU_DEP_3)
	v_fma_f16 v5, v69, v9, -v5
	v_cvt_f64_f32_e32 v[3:4], v3
	s_delay_alu instid0(VALU_DEP_3) | instskip(NEXT) | instid1(VALU_DEP_3)
	v_cvt_f32_f16_e32 v0, v0
	v_cvt_f32_f16_e32 v5, v5
	s_delay_alu instid0(VALU_DEP_2) | instskip(SKIP_1) | instid1(VALU_DEP_4)
	v_cvt_f64_f32_e32 v[0:1], v0
	s_wait_alu 0xfffe
	v_mul_f64_e32 v[3:4], s[8:9], v[3:4]
	s_delay_alu instid0(VALU_DEP_2) | instskip(NEXT) | instid1(VALU_DEP_2)
	v_mul_f64_e32 v[0:1], s[8:9], v[0:1]
	v_and_or_b32 v3, 0x1ff, v4, v3
	v_lshrrev_b32_e32 v7, 8, v4
	v_bfe_u32 v10, v4, 20, 11
	s_delay_alu instid0(VALU_DEP_3)
	v_cmp_ne_u32_e64 s0, 0, v3
	v_and_or_b32 v0, 0x1ff, v1, v0
	v_lshrrev_b32_e32 v14, 8, v1
	v_bfe_u32 v15, v1, 20, 11
	v_add_nc_u32_e32 v16, 0xfffffc10, v10
	s_wait_alu 0xf1ff
	v_cndmask_b32_e64 v3, 0, 1, s0
	v_cmp_ne_u32_e64 s0, 0, v0
	s_delay_alu instid0(VALU_DEP_2) | instskip(SKIP_2) | instid1(VALU_DEP_3)
	v_and_or_b32 v3, 0xffe, v7, v3
	v_sub_nc_u32_e32 v7, 0x3f1, v10
	s_wait_alu 0xf1ff
	v_cndmask_b32_e64 v0, 0, 1, s0
	v_mad_co_u64_u32 v[9:10], null, s6, v29, 0
	v_or_b32_e32 v11, 0x1000, v3
	v_med3_i32 v12, v7, 0, 13
	v_cvt_f32_f16_e32 v7, v8
	v_and_or_b32 v17, 0xffe, v14, v0
	v_sub_nc_u32_e32 v0, 0x3f1, v15
	v_add_nc_u32_e32 v15, 0xfffffc10, v15
	v_lshrrev_b32_e32 v13, v12, v11
	v_cvt_f64_f32_e32 v[7:8], v7
	s_delay_alu instid0(VALU_DEP_4) | instskip(NEXT) | instid1(VALU_DEP_3)
	v_med3_i32 v0, v0, 0, 13
	v_lshlrev_b32_e32 v12, v12, v13
	s_delay_alu instid0(VALU_DEP_1) | instskip(SKIP_2) | instid1(VALU_DEP_2)
	v_cmp_ne_u32_e64 s0, v12, v11
	v_lshl_or_b32 v12, v16, 12, v3
	s_wait_alu 0xf1ff
	v_cndmask_b32_e64 v11, 0, 1, s0
	v_cmp_gt_i32_e64 s0, 1, v16
	s_delay_alu instid0(VALU_DEP_2) | instskip(SKIP_2) | instid1(VALU_DEP_2)
	v_or_b32_e32 v11, v13, v11
	v_or_b32_e32 v13, 0x1000, v17
	s_wait_alu 0xf1ff
	v_cndmask_b32_e64 v18, v12, v11, s0
	v_cvt_f64_f32_e32 v[11:12], v5
	s_delay_alu instid0(VALU_DEP_3) | instskip(NEXT) | instid1(VALU_DEP_3)
	v_lshrrev_b32_e32 v19, v0, v13
	v_and_b32_e32 v5, 7, v18
	s_delay_alu instid0(VALU_DEP_2) | instskip(SKIP_2) | instid1(VALU_DEP_4)
	v_lshlrev_b32_e32 v14, v0, v19
	v_mov_b32_e32 v0, v10
	v_lshl_or_b32 v10, v15, 12, v17
	v_cmp_lt_i32_e64 s0, 5, v5
	v_cmp_eq_u32_e64 s1, 3, v5
	v_cmp_ne_u32_e64 s2, v14, v13
	v_mad_co_u64_u32 v[13:14], null, s7, v29, v[0:1]
	v_lshrrev_b32_e32 v0, 2, v18
	v_mul_f64_e32 v[7:8], s[8:9], v[7:8]
	s_or_b32 s0, s1, s0
	v_cndmask_b32_e64 v5, 0, 1, s2
	v_lshrrev_b32_e32 v18, 16, v6
	s_wait_alu 0xfffe
	v_add_co_ci_u32_e64 v0, s0, 0, v0, s0
	v_cmp_ne_u32_e64 s0, 0, v3
	v_or_b32_e32 v5, v19, v5
	v_lshrrev_b32_e32 v14, 16, v4
	s_wait_alu 0xf1ff
	s_delay_alu instid0(VALU_DEP_3) | instskip(SKIP_1) | instid1(VALU_DEP_2)
	v_cndmask_b32_e64 v3, 0, 1, s0
	v_cmp_gt_i32_e64 s0, 1, v15
	v_lshl_or_b32 v3, v3, 9, 0x7c00
	s_wait_alu 0xf1ff
	s_delay_alu instid0(VALU_DEP_2) | instskip(SKIP_1) | instid1(VALU_DEP_2)
	v_cndmask_b32_e64 v5, v10, v5, s0
	v_cmp_gt_i32_e64 s0, 31, v16
	v_dual_mov_b32 v10, v13 :: v_dual_and_b32 v13, 7, v5
	s_wait_alu 0xf1ff
	s_delay_alu instid0(VALU_DEP_2)
	v_cndmask_b32_e64 v0, 0x7c00, v0, s0
	v_cmp_eq_u32_e64 s0, 0x40f, v16
	v_mul_f16_e32 v16, v71, v18
	v_lshrrev_b32_e32 v5, 2, v5
	v_cmp_eq_u32_e64 s1, 3, v13
	s_wait_alu 0xf1ff
	v_cndmask_b32_e64 v0, v0, v3, s0
	v_cmp_lt_i32_e64 s0, 5, v13
	v_mul_f64_e32 v[3:4], s[8:9], v[11:12]
	v_fmac_f16_e32 v16, v67, v6
	v_mul_f16_e32 v6, v71, v6
	v_and_or_b32 v19, 0x8000, v14, v0
	s_or_b32 s0, s1, s0
	v_mad_co_u64_u32 v[13:14], null, s4, v62, 0
	s_wait_alu 0xfffe
	v_add_co_ci_u32_e64 v0, s0, 0, v5, s0
	v_cmp_ne_u32_e64 s0, 0, v17
	v_cvt_f32_f16_e32 v11, v16
	v_and_or_b32 v7, 0x1ff, v8, v7
	v_lshrrev_b32_e32 v16, 8, v8
	v_lshrrev_b32_e32 v17, 16, v1
	s_wait_alu 0xf1ff
	v_cndmask_b32_e64 v5, 0, 1, s0
	v_cmp_gt_i32_e64 s0, 31, v15
	v_cvt_f64_f32_e32 v[11:12], v11
	v_fma_f16 v6, v67, v18, -v6
	s_delay_alu instid0(VALU_DEP_4)
	v_lshl_or_b32 v5, v5, 9, 0x7c00
	s_wait_alu 0xf1ff
	v_cndmask_b32_e64 v0, 0x7c00, v0, s0
	v_cmp_ne_u32_e64 s0, 0, v7
	v_cvt_f32_f16_e32 v6, v6
	s_wait_alu 0xf1ff
	s_delay_alu instid0(VALU_DEP_2) | instskip(SKIP_2) | instid1(VALU_DEP_3)
	v_cndmask_b32_e64 v7, 0, 1, s0
	v_cmp_eq_u32_e64 s0, 0x40f, v15
	v_bfe_u32 v15, v8, 20, 11
	v_and_or_b32 v7, 0xffe, v16, v7
	s_wait_alu 0xf1ff
	s_delay_alu instid0(VALU_DEP_3) | instskip(SKIP_3) | instid1(VALU_DEP_4)
	v_cndmask_b32_e64 v5, v0, v5, s0
	v_mov_b32_e32 v0, v14
	v_sub_nc_u32_e32 v14, 0x3f1, v15
	v_add_nc_u32_e32 v20, 0xfffffc10, v15
	v_and_or_b32 v5, 0x8000, v17, v5
	s_delay_alu instid0(VALU_DEP_4)
	v_mad_co_u64_u32 v[0:1], null, s5, v62, v[0:1]
	v_or_b32_e32 v1, 0x1000, v7
	v_med3_i32 v16, v14, 0, 13
	v_and_b32_e32 v17, 0xffff, v19
	v_and_or_b32 v3, 0x1ff, v4, v3
	v_bfe_u32 v19, v4, 20, 11
	s_delay_alu instid0(VALU_DEP_4) | instskip(NEXT) | instid1(VALU_DEP_4)
	v_lshrrev_b32_e32 v18, v16, v1
	v_lshl_or_b32 v17, v5, 16, v17
	v_cvt_f64_f32_e32 v[5:6], v6
	v_mov_b32_e32 v14, v0
	v_cmp_ne_u32_e64 s0, 0, v3
	v_lshlrev_b32_e32 v0, v16, v18
	v_lshrrev_b32_e32 v16, 8, v4
	v_lshrrev_b32_e32 v4, 16, v4
	v_mul_f64_e32 v[11:12], s[8:9], v[11:12]
	s_wait_alu 0xf1ff
	v_cndmask_b32_e64 v3, 0, 1, s0
	v_cmp_ne_u32_e64 s0, v0, v1
	v_sub_nc_u32_e32 v1, 0x3f1, v19
	v_add_nc_u32_e32 v19, 0xfffffc10, v19
	s_delay_alu instid0(VALU_DEP_4)
	v_and_or_b32 v3, 0xffe, v16, v3
	s_wait_alu 0xf1ff
	v_cndmask_b32_e64 v0, 0, 1, s0
	v_lshl_or_b32 v16, v20, 12, v7
	v_cmp_gt_i32_e64 s0, 1, v20
	v_med3_i32 v21, v1, 0, 13
	s_delay_alu instid0(VALU_DEP_4)
	v_or_b32_e32 v15, v18, v0
	v_lshlrev_b64_e32 v[0:1], 2, v[9:10]
	v_or_b32_e32 v18, 0x1000, v3
	v_lshlrev_b64_e32 v[9:10], 2, v[13:14]
	ds_load_2addr_stride64_b32 v[13:14], v49 offset0:9 offset1:12
	s_wait_alu 0xf1ff
	v_cndmask_b32_e64 v15, v16, v15, s0
	v_add_co_u32 v0, s0, s10, v0
	v_lshrrev_b32_e32 v16, v21, v18
	s_wait_alu 0xf1ff
	v_add_co_ci_u32_e64 v1, s0, s11, v1, s0
	v_and_b32_e32 v22, 7, v15
	v_add_co_u32 v9, s0, v0, v9
	v_lshlrev_b32_e32 v21, v21, v16
	s_wait_alu 0xf1ff
	v_add_co_ci_u32_e64 v10, s0, v1, v10, s0
	v_cmp_lt_i32_e64 s0, 5, v22
	v_cmp_eq_u32_e64 s1, 3, v22
	v_lshrrev_b32_e32 v15, 2, v15
	v_cmp_ne_u32_e64 s2, v21, v18
	v_mul_f64_e32 v[5:6], s[8:9], v[5:6]
	global_store_b32 v[9:10], v17, off
	s_or_b32 s0, s1, s0
	s_wait_dscnt 0x0
	v_lshrrev_b32_e32 v21, 16, v13
	s_wait_alu 0xfffe
	v_add_co_ci_u32_e64 v15, s0, 0, v15, s0
	v_cndmask_b32_e64 v18, 0, 1, s2
	v_cmp_ne_u32_e64 s0, 0, v7
	v_and_or_b32 v11, 0x1ff, v12, v11
	v_cmp_eq_u32_e64 s2, 0x40f, v20
	v_lshrrev_b32_e32 v23, 8, v12
	v_or_b32_e32 v16, v16, v18
	v_lshl_or_b32 v18, v19, 12, v3
	s_wait_alu 0xf1ff
	v_cndmask_b32_e64 v7, 0, 1, s0
	v_cmp_gt_i32_e64 s0, 1, v19
	v_bfe_u32 v24, v12, 20, 11
	s_mul_u64 s[10:11], s[4:5], 0x600
	s_delay_alu instid0(VALU_DEP_3) | instskip(NEXT) | instid1(VALU_DEP_3)
	v_lshl_or_b32 v7, v7, 9, 0x7c00
	v_cndmask_b32_e64 v18, v18, v16, s0
	v_cmp_gt_i32_e64 s0, 31, v20
	v_mul_f16_e32 v16, v68, v21
	s_wait_alu 0xf1ff
	s_delay_alu instid0(VALU_DEP_2)
	v_cndmask_b32_e64 v22, 0x7c00, v15, s0
	v_and_b32_e32 v15, 7, v18
	v_cmp_ne_u32_e64 s0, 0, v11
	v_fmac_f16_e32 v16, v65, v13
	v_mul_f16_e32 v13, v68, v13
	v_cndmask_b32_e64 v20, v22, v7, s2
	v_cmp_eq_u32_e64 s1, 3, v15
	s_wait_alu 0xf1ff
	v_cndmask_b32_e64 v11, 0, 1, s0
	v_cmp_lt_i32_e64 s0, 5, v15
	v_lshrrev_b32_e32 v7, 2, v18
	v_cvt_f32_f16_e32 v16, v16
	v_fma_f16 v13, v65, v21, -v13
	v_and_or_b32 v11, 0xffe, v23, v11
	s_or_b32 s0, s1, s0
	v_sub_nc_u32_e32 v23, 0x3f1, v24
	s_wait_alu 0xfffe
	v_add_co_ci_u32_e64 v7, s0, 0, v7, s0
	v_cmp_gt_i32_e64 s0, 31, v19
	v_cvt_f64_f32_e32 v[15:16], v16
	v_or_b32_e32 v18, 0x1000, v11
	v_med3_i32 v22, v23, 0, 13
	v_and_or_b32 v5, 0x1ff, v6, v5
	s_wait_alu 0xf1ff
	v_cndmask_b32_e64 v25, 0x7c00, v7, s0
	v_cmp_ne_u32_e64 s0, 0, v3
	v_lshrrev_b32_e32 v23, 16, v8
	v_lshrrev_b32_e32 v8, v22, v18
	v_bfe_u32 v26, v6, 20, 11
	v_cvt_f32_f16_e32 v13, v13
	s_wait_alu 0xf1ff
	v_cndmask_b32_e64 v3, 0, 1, s0
	v_cmp_ne_u32_e64 s0, 0, v5
	v_lshlrev_b32_e32 v7, v22, v8
	v_lshrrev_b32_e32 v22, 8, v6
	s_mul_u64 s[2:3], s[4:5], 0xc0
	v_lshl_or_b32 v3, v3, 9, 0x7c00
	v_cndmask_b32_e64 v5, 0, 1, s0
	v_cmp_ne_u32_e64 s0, v7, v18
	v_add_nc_u32_e32 v18, 0xfffffc10, v24
	s_wait_alu 0xfffe
	s_lshl_b64 s[6:7], s[2:3], 2
	v_and_or_b32 v5, 0xffe, v22, v5
	v_sub_nc_u32_e32 v22, 0x3f1, v26
	v_cndmask_b32_e64 v7, 0, 1, s0
	v_cmp_gt_i32_e64 s0, 1, v18
	s_delay_alu instid0(VALU_DEP_4) | instskip(NEXT) | instid1(VALU_DEP_4)
	v_or_b32_e32 v21, 0x1000, v5
	v_med3_i32 v22, v22, 0, 13
	s_delay_alu instid0(VALU_DEP_4) | instskip(SKIP_1) | instid1(VALU_DEP_3)
	v_or_b32_e32 v7, v8, v7
	v_lshl_or_b32 v8, v18, 12, v11
	v_lshrrev_b32_e32 v29, v22, v21
	s_wait_alu 0xf1ff
	s_delay_alu instid0(VALU_DEP_2)
	v_cndmask_b32_e64 v24, v8, v7, s0
	v_cmp_eq_u32_e64 s0, 0x40f, v19
	v_cvt_f64_f32_e32 v[7:8], v13
	v_lshlrev_b32_e32 v17, v22, v29
	v_and_or_b32 v19, 0x8000, v23, v20
	v_and_b32_e32 v13, 7, v24
	s_wait_alu 0xf1ff
	v_cndmask_b32_e64 v3, v25, v3, s0
	v_mul_f64_e32 v[15:16], s[8:9], v[15:16]
	v_cmp_ne_u32_e64 s1, v17, v21
	v_add_nc_u32_e32 v17, 0xfffffc10, v26
	v_cmp_lt_i32_e64 s0, 5, v13
	v_and_or_b32 v3, 0x8000, v4, v3
	s_wait_alu 0xf1ff
	v_cndmask_b32_e64 v4, 0, 1, s1
	v_cmp_eq_u32_e64 s1, 3, v13
	v_and_b32_e32 v13, 0xffff, v19
	v_lshrrev_b32_e32 v19, 2, v24
	v_lshl_or_b32 v20, v17, 12, v5
	v_or_b32_e32 v4, v29, v4
	s_or_b32 s0, s1, s0
	s_wait_alu 0xfffe
	v_add_co_ci_u32_e64 v19, s0, 0, v19, s0
	v_cmp_ne_u32_e64 s0, 0, v11
	s_wait_alu 0xf1ff
	s_delay_alu instid0(VALU_DEP_1) | instskip(SKIP_1) | instid1(VALU_DEP_2)
	v_cndmask_b32_e64 v11, 0, 1, s0
	v_cmp_gt_i32_e64 s0, 1, v17
	v_lshl_or_b32 v11, v11, 9, 0x7c00
	s_wait_alu 0xf1ff
	s_delay_alu instid0(VALU_DEP_2) | instskip(SKIP_2) | instid1(VALU_DEP_1)
	v_cndmask_b32_e64 v20, v20, v4, s0
	v_cmp_gt_i32_e64 s0, 31, v18
	s_wait_alu 0xf1ff
	v_cndmask_b32_e64 v4, 0x7c00, v19, s0
	v_lshl_or_b32 v19, v3, 16, v13
	v_and_b32_e32 v3, 7, v20
	v_cmp_eq_u32_e64 s0, 0x40f, v18
	v_lshrrev_b32_e32 v18, 16, v12
	v_lshrrev_b32_e32 v12, 8, v16
	s_delay_alu instid0(VALU_DEP_4)
	v_cmp_eq_u32_e64 s1, 3, v3
	s_wait_alu 0xf1ff
	v_cndmask_b32_e64 v13, v4, v11, s0
	v_cmp_lt_i32_e64 s0, 5, v3
	v_mul_f64_e32 v[3:4], s[8:9], v[7:8]
	v_lshrrev_b32_e32 v7, 2, v20
	v_and_or_b32 v8, 0x1ff, v16, v15
	v_lshrrev_b32_e32 v15, 16, v14
	s_or_b32 s0, s1, s0
	v_bfe_u32 v20, v16, 20, 11
	s_wait_alu 0xfffe
	v_add_co_ci_u32_e64 v7, s0, 0, v7, s0
	v_cmp_ne_u32_e64 s0, 0, v5
	v_mul_f16_e32 v11, v66, v15
	v_sub_nc_u32_e32 v23, 0x3f1, v20
	v_and_or_b32 v18, 0x8000, v18, v13
	v_mul_f16_e32 v13, v66, v14
	s_wait_alu 0xf1ff
	v_cndmask_b32_e64 v5, 0, 1, s0
	v_cmp_ne_u32_e64 s0, 0, v8
	v_fmac_f16_e32 v11, v63, v14
	v_med3_i32 v23, v23, 0, 13
	v_fma_f16 v13, v63, v15, -v13
	v_lshl_or_b32 v5, v5, 9, 0x7c00
	s_wait_alu 0xf1ff
	v_cndmask_b32_e64 v8, 0, 1, s0
	v_cmp_gt_i32_e64 s0, 31, v17
	v_cvt_f32_f16_e32 v11, v11
	v_add_nc_u32_e32 v20, 0xfffffc10, v20
	v_and_b32_e32 v18, 0xffff, v18
	v_and_or_b32 v22, 0xffe, v12, v8
	s_wait_alu 0xf1ff
	v_cndmask_b32_e64 v21, 0x7c00, v7, s0
	v_mad_co_u64_u32 v[7:8], null, s4, v59, 0
	v_cvt_f64_f32_e32 v[11:12], v11
	v_or_b32_e32 v24, 0x1000, v22
	v_add_co_u32 v9, s0, v9, s6
	s_wait_alu 0xf1ff
	v_add_co_ci_u32_e64 v10, s0, s7, v10, s0
	s_delay_alu instid0(VALU_DEP_3)
	v_lshrrev_b32_e32 v25, v23, v24
	v_cmp_eq_u32_e64 s0, 0x40f, v17
	global_store_b32 v[9:10], v19, off
	v_and_or_b32 v3, 0x1ff, v4, v3
	v_lshrrev_b32_e32 v15, 8, v4
	s_wait_alu 0xf1ff
	v_cndmask_b32_e64 v17, v21, v5, s0
	v_dual_mov_b32 v5, v8 :: v_dual_lshlrev_b32 v8, v23, v25
	v_lshrrev_b32_e32 v21, 16, v6
	v_bfe_u32 v23, v4, 20, 11
	v_lshrrev_b32_e32 v4, 16, v4
	s_delay_alu instid0(VALU_DEP_4)
	v_mad_co_u64_u32 v[5:6], null, s5, v59, v[5:6]
	v_cmp_ne_u32_e64 s0, v8, v24
	v_cvt_f32_f16_e32 v8, v13
	v_and_or_b32 v17, 0x8000, v21, v17
	v_lshl_or_b32 v21, v20, 12, v22
	s_wait_alu 0xf1ff
	v_cndmask_b32_e64 v6, 0, 1, s0
	v_cmp_ne_u32_e64 s0, 0, v3
	v_cvt_f64_f32_e32 v[13:14], v8
	v_mov_b32_e32 v8, v5
	v_lshl_or_b32 v17, v17, 16, v18
	v_or_b32_e32 v6, v25, v6
	s_wait_alu 0xf1ff
	v_cndmask_b32_e64 v3, 0, 1, s0
	v_cmp_gt_i32_e64 s0, 1, v20
	v_lshlrev_b64_e32 v[7:8], 2, v[7:8]
	s_delay_alu instid0(VALU_DEP_3)
	v_and_or_b32 v3, 0xffe, v15, v3
	v_sub_nc_u32_e32 v15, 0x3f1, v23
	s_wait_alu 0xf1ff
	v_cndmask_b32_e64 v21, v21, v6, s0
	v_mul_f64_e32 v[5:6], s[8:9], v[11:12]
	ds_load_2addr_stride64_b32 v[11:12], v49 offset0:15 offset1:18
	v_or_b32_e32 v24, 0x1000, v3
	v_med3_i32 v15, v15, 0, 13
	v_and_b32_e32 v19, 7, v21
	v_lshrrev_b32_e32 v18, 2, v21
	s_delay_alu instid0(VALU_DEP_3) | instskip(NEXT) | instid1(VALU_DEP_3)
	v_lshrrev_b32_e32 v25, v15, v24
	v_cmp_lt_i32_e64 s0, 5, v19
	v_cmp_eq_u32_e64 s1, 3, v19
	v_add_nc_u32_e32 v19, 0xfffffc10, v23
	s_delay_alu instid0(VALU_DEP_4) | instskip(NEXT) | instid1(VALU_DEP_3)
	v_lshlrev_b32_e32 v15, v15, v25
	s_or_b32 s0, s1, s0
	s_wait_alu 0xfffe
	v_add_co_ci_u32_e64 v18, s0, 0, v18, s0
	s_delay_alu instid0(VALU_DEP_2) | instskip(SKIP_3) | instid1(VALU_DEP_3)
	v_cmp_ne_u32_e64 s2, v15, v24
	v_cmp_ne_u32_e64 s0, 0, v22
	v_lshl_or_b32 v22, v19, 12, v3
	s_wait_alu 0xf1ff
	v_cndmask_b32_e64 v15, 0, 1, s2
	s_delay_alu instid0(VALU_DEP_3) | instskip(SKIP_2) | instid1(VALU_DEP_4)
	v_cndmask_b32_e64 v21, 0, 1, s0
	v_cmp_gt_i32_e64 s0, 31, v20
	v_mul_f64_e32 v[13:14], s[8:9], v[13:14]
	v_or_b32_e32 v15, v25, v15
	s_delay_alu instid0(VALU_DEP_4) | instskip(SKIP_4) | instid1(VALU_DEP_1)
	v_lshl_or_b32 v21, v21, 9, 0x7c00
	s_wait_alu 0xf1ff
	v_cndmask_b32_e64 v18, 0x7c00, v18, s0
	v_cmp_gt_i32_e64 s0, 1, v19
	s_wait_alu 0xf1ff
	v_cndmask_b32_e64 v15, v22, v15, s0
	s_wait_dscnt 0x0
	v_lshrrev_b32_e32 v22, 16, v11
	v_add_co_u32 v7, s0, v0, v7
	s_wait_alu 0xf1ff
	v_add_co_ci_u32_e64 v8, s0, v1, v8, s0
	s_delay_alu instid0(VALU_DEP_3)
	v_mul_f16_e32 v23, v64, v22
	v_and_b32_e32 v24, 7, v15
	v_cmp_eq_u32_e64 s0, 0x40f, v20
	v_and_or_b32 v5, 0x1ff, v6, v5
	v_lshrrev_b32_e32 v20, 16, v16
	v_fmac_f16_e32 v23, v60, v11
	v_cmp_eq_u32_e64 s1, 3, v24
	s_wait_alu 0xf1ff
	v_cndmask_b32_e64 v18, v18, v21, s0
	v_cmp_lt_i32_e64 s0, 5, v24
	v_lshrrev_b32_e32 v21, 2, v15
	v_cvt_f32_f16_e32 v15, v23
	v_cmp_ne_u32_e64 s2, 0, v5
	v_lshrrev_b32_e32 v23, 8, v6
	s_or_b32 s0, s1, s0
	v_bfe_u32 v24, v6, 20, 11
	s_wait_alu 0xfffe
	v_add_co_ci_u32_e64 v21, s0, 0, v21, s0
	v_cvt_f64_f32_e32 v[15:16], v15
	v_cmp_ne_u32_e64 s0, 0, v3
	v_cndmask_b32_e64 v5, 0, 1, s2
	v_mul_f16_e32 v11, v64, v11
	v_and_or_b32 v18, 0x8000, v20, v18
	v_and_or_b32 v13, 0x1ff, v14, v13
	s_wait_alu 0xf1ff
	v_cndmask_b32_e64 v3, 0, 1, s0
	v_cmp_gt_i32_e64 s0, 31, v19
	v_and_or_b32 v5, 0xffe, v23, v5
	v_sub_nc_u32_e32 v23, 0x3f1, v24
	v_fma_f16 v11, v60, v22, -v11
	v_lshl_or_b32 v3, v3, 9, 0x7c00
	s_wait_alu 0xf1ff
	v_cndmask_b32_e64 v21, 0x7c00, v21, s0
	v_cmp_eq_u32_e64 s0, 0x40f, v19
	v_or_b32_e32 v25, 0x1000, v5
	v_med3_i32 v23, v23, 0, 13
	v_bfe_u32 v22, v14, 20, 11
	v_and_b32_e32 v18, 0xffff, v18
	s_wait_alu 0xf1ff
	v_cndmask_b32_e64 v3, v21, v3, s0
	v_cmp_ne_u32_e64 s0, 0, v13
	v_lshrrev_b32_e32 v19, v23, v25
	v_lshrrev_b32_e32 v21, 8, v14
	global_store_b32 v[7:8], v17, off
	v_and_or_b32 v20, 0x8000, v4, v3
	v_cvt_f32_f16_e32 v3, v11
	v_lshlrev_b32_e32 v11, v23, v19
	s_wait_alu 0xf1ff
	v_cndmask_b32_e64 v13, 0, 1, s0
	v_add_nc_u32_e32 v23, 0xfffffc10, v24
	v_lshl_or_b32 v18, v20, 16, v18
	v_cvt_f64_f32_e32 v[3:4], v3
	v_cmp_ne_u32_e64 s0, v11, v25
	v_and_or_b32 v13, 0xffe, v21, v13
	v_sub_nc_u32_e32 v21, 0x3f1, v22
	s_wait_alu 0xf1ff
	s_delay_alu instid0(VALU_DEP_3)
	v_cndmask_b32_e64 v11, 0, 1, s0
	v_cmp_gt_i32_e64 s0, 1, v23
	v_or_b32_e32 v24, 0x1000, v13
	v_mul_f64_e32 v[15:16], s[8:9], v[15:16]
	v_med3_i32 v21, v21, 0, 13
	v_or_b32_e32 v11, v19, v11
	v_lshl_or_b32 v19, v23, 12, v5
	s_wait_alu 0xf1ff
	s_delay_alu instid0(VALU_DEP_1)
	v_cndmask_b32_e64 v11, v19, v11, s0
	v_lshrrev_b32_e32 v19, v21, v24
	v_add_co_u32 v9, s0, v9, s10
	s_wait_alu 0xf1ff
	v_add_co_ci_u32_e64 v10, s0, s11, v10, s0
	v_and_b32_e32 v20, 7, v11
	v_lshlrev_b32_e32 v7, v21, v19
	v_lshrrev_b32_e32 v8, 2, v11
	global_store_b32 v[9:10], v18, off
	v_cmp_lt_i32_e64 s0, 5, v20
	v_cmp_eq_u32_e64 s1, 3, v20
	v_cmp_ne_u32_e64 s2, v7, v24
	v_add_nc_u32_e32 v20, 0xfffffc10, v22
	s_delay_alu instid0(VALU_DEP_3) | instskip(NEXT) | instid1(VALU_DEP_2)
	s_or_b32 s0, s1, s0
	v_cndmask_b32_e64 v7, 0, 1, s2
	s_wait_alu 0xfffe
	v_add_co_ci_u32_e64 v8, s0, 0, v8, s0
	v_cmp_ne_u32_e64 s0, 0, v5
	v_mul_f64_e32 v[3:4], s[8:9], v[3:4]
	v_or_b32_e32 v7, v19, v7
	v_lshl_or_b32 v11, v20, 12, v13
	s_wait_alu 0xf1ff
	v_cndmask_b32_e64 v5, 0, 1, s0
	v_cmp_gt_i32_e64 s0, 1, v20
	v_and_or_b32 v15, 0x1ff, v16, v15
	s_delay_alu instid0(VALU_DEP_3) | instskip(SKIP_1) | instid1(VALU_DEP_3)
	v_lshl_or_b32 v5, v5, 9, 0x7c00
	s_wait_alu 0xf1ff
	v_cndmask_b32_e64 v7, v11, v7, s0
	v_lshrrev_b32_e32 v11, 16, v12
	v_cmp_gt_i32_e64 s0, 31, v23
	v_cmp_ne_u32_e64 s1, 0, v15
	v_bfe_u32 v15, v16, 20, 11
	v_and_b32_e32 v17, 7, v7
	v_mul_f16_e32 v18, v61, v11
	s_wait_alu 0xf1ff
	v_cndmask_b32_e64 v8, 0x7c00, v8, s0
	v_cmp_eq_u32_e64 s0, 0x40f, v23
	v_lshrrev_b32_e32 v23, 16, v6
	v_fmac_f16_e32 v18, v57, v12
	v_mul_f16_e32 v12, v61, v12
	s_wait_alu 0xf1ff
	v_cndmask_b32_e64 v19, v8, v5, s0
	v_cndmask_b32_e64 v5, 0, 1, s1
	v_lshrrev_b32_e32 v8, 8, v16
	v_cvt_f32_f16_e32 v18, v18
	v_cmp_lt_i32_e64 s0, 5, v17
	v_cmp_eq_u32_e64 s1, 3, v17
	v_lshrrev_b32_e32 v17, 2, v7
	v_and_or_b32 v21, 0xffe, v8, v5
	v_cvt_f64_f32_e32 v[7:8], v18
	v_sub_nc_u32_e32 v5, 0x3f1, v15
	s_or_b32 s0, s1, s0
	v_fma_f16 v11, v57, v11, -v12
	s_wait_alu 0xfffe
	v_add_co_ci_u32_e64 v17, s0, 0, v17, s0
	v_cmp_ne_u32_e64 s0, 0, v13
	v_or_b32_e32 v18, 0x1000, v21
	v_med3_i32 v22, v5, 0, 13
	v_and_or_b32 v3, 0x1ff, v4, v3
	v_lshrrev_b32_e32 v12, 8, v4
	s_wait_alu 0xf1ff
	v_cndmask_b32_e64 v13, 0, 1, s0
	v_cmp_gt_i32_e64 s0, 31, v20
	v_cvt_f32_f16_e32 v11, v11
	v_bfe_u32 v25, v4, 20, 11
	v_mad_co_u64_u32 v[5:6], null, s4, v54, 0
	s_wait_alu 0xf1ff
	v_cndmask_b32_e64 v24, 0x7c00, v17, s0
	v_lshrrev_b32_e32 v17, v22, v18
	v_cmp_ne_u32_e64 s0, 0, v3
	v_sub_nc_u32_e32 v26, 0x3f1, v25
	v_add_nc_u32_e32 v15, 0xfffffc10, v15
	v_lshl_or_b32 v13, v13, 9, 0x7c00
	v_lshlrev_b32_e32 v22, v22, v17
	s_wait_alu 0xf1ff
	v_cndmask_b32_e64 v3, 0, 1, s0
	v_med3_i32 v26, v26, 0, 13
	v_lshl_or_b32 v29, v15, 12, v21
	v_and_or_b32 v19, 0x8000, v23, v19
	v_cmp_ne_u32_e64 s0, v22, v18
	v_and_or_b32 v22, 0xffe, v12, v3
	v_cvt_f64_f32_e32 v[11:12], v11
	v_mov_b32_e32 v3, v6
	v_add_nc_u32_e32 v23, 0xfffffc10, v25
	s_wait_alu 0xf1ff
	v_cndmask_b32_e64 v18, 0, 1, s0
	v_or_b32_e32 v30, 0x1000, v22
	v_cmp_gt_i32_e64 s0, 1, v15
	v_and_b32_e32 v19, 0xffff, v19
	v_lshrrev_b32_e32 v16, 16, v16
	v_or_b32_e32 v6, v17, v18
	v_mad_co_u64_u32 v[17:18], null, s5, v54, v[3:4]
	v_mul_f64_e32 v[7:8], s[8:9], v[7:8]
	v_lshrrev_b32_e32 v18, v26, v30
	s_wait_alu 0xf1ff
	v_cndmask_b32_e64 v3, v29, v6, s0
	v_cmp_eq_u32_e64 s0, 0x40f, v20
	v_lshrrev_b32_e32 v20, 16, v14
	v_lshlrev_b32_e32 v26, v26, v18
	s_wait_alu 0xf1ff
	s_delay_alu instid0(VALU_DEP_3)
	v_cndmask_b32_e64 v6, v24, v13, s0
	ds_load_2addr_stride64_b32 v[13:14], v49 offset0:21 offset1:24
	v_and_b32_e32 v24, 7, v3
	v_cmp_ne_u32_e64 s1, v26, v30
	v_lshrrev_b32_e32 v3, 2, v3
	v_and_or_b32 v20, 0x8000, v20, v6
	v_mov_b32_e32 v6, v17
	v_cmp_lt_i32_e64 s0, 5, v24
	s_wait_alu 0xf1ff
	v_cndmask_b32_e64 v17, 0, 1, s1
	v_cmp_eq_u32_e64 s1, 3, v24
	v_lshl_or_b32 v19, v20, 16, v19
	s_delay_alu instid0(VALU_DEP_3) | instskip(NEXT) | instid1(VALU_DEP_3)
	v_or_b32_e32 v17, v18, v17
	s_or_b32 s0, s1, s0
	v_lshl_or_b32 v18, v23, 12, v22
	s_wait_alu 0xfffe
	v_add_co_ci_u32_e64 v3, s0, 0, v3, s0
	v_cmp_ne_u32_e64 s0, 0, v21
	v_mul_f64_e32 v[11:12], s[8:9], v[11:12]
	s_wait_dscnt 0x0
	v_lshrrev_b32_e32 v24, 16, v13
	s_wait_alu 0xf1ff
	v_cndmask_b32_e64 v21, 0, 1, s0
	v_cmp_gt_i32_e64 s0, 1, v23
	s_wait_alu 0xf1ff
	s_delay_alu instid0(VALU_DEP_1) | instskip(NEXT) | instid1(VALU_DEP_3)
	v_cndmask_b32_e64 v17, v18, v17, s0
	v_lshl_or_b32 v18, v21, 9, 0x7c00
	v_mul_f16_e32 v21, v58, v24
	v_cmp_gt_i32_e64 s0, 31, v15
	v_and_or_b32 v7, 0x1ff, v8, v7
	v_and_b32_e32 v20, 7, v17
	s_delay_alu instid0(VALU_DEP_4)
	v_fmac_f16_e32 v21, v55, v13
	s_wait_alu 0xf1ff
	v_cndmask_b32_e64 v3, 0x7c00, v3, s0
	v_cmp_eq_u32_e64 s0, 0x40f, v15
	v_lshrrev_b32_e32 v15, 2, v17
	v_cmp_ne_u32_e64 s2, 0, v7
	v_cvt_f32_f16_e32 v17, v21
	v_cmp_eq_u32_e64 s1, 3, v20
	s_wait_alu 0xf1ff
	v_cndmask_b32_e64 v3, v3, v18, s0
	v_cmp_lt_i32_e64 s0, 5, v20
	v_cndmask_b32_e64 v7, 0, 1, s2
	v_lshrrev_b32_e32 v20, 8, v8
	v_bfe_u32 v21, v8, 20, 11
	v_cvt_f64_f32_e32 v[17:18], v17
	s_or_b32 s0, s1, s0
	v_and_or_b32 v16, 0x8000, v16, v3
	s_wait_alu 0xfffe
	v_add_co_ci_u32_e64 v15, s0, 0, v15, s0
	v_cmp_ne_u32_e64 s0, 0, v22
	v_and_or_b32 v7, 0xffe, v20, v7
	v_sub_nc_u32_e32 v20, 0x3f1, v21
	v_add_nc_u32_e32 v21, 0xfffffc10, v21
	v_and_or_b32 v11, 0x1ff, v12, v11
	s_wait_alu 0xf1ff
	v_cndmask_b32_e64 v22, 0, 1, s0
	v_cmp_gt_i32_e64 s0, 31, v23
	v_or_b32_e32 v25, 0x1000, v7
	v_med3_i32 v20, v20, 0, 13
	v_and_b32_e32 v26, 0xffff, v16
	v_lshl_or_b32 v22, v22, 9, 0x7c00
	s_wait_alu 0xf1ff
	v_cndmask_b32_e64 v15, 0x7c00, v15, s0
	v_cmp_eq_u32_e64 s0, 0x40f, v23
	v_lshrrev_b32_e32 v23, v20, v25
	s_wait_alu 0xf1ff
	s_delay_alu instid0(VALU_DEP_2)
	v_cndmask_b32_e64 v15, v15, v22, s0
	v_lshrrev_b32_e32 v22, 16, v4
	v_lshlrev_b64_e32 v[3:4], 2, v[5:6]
	v_lshlrev_b32_e32 v5, v20, v23
	v_cmp_ne_u32_e64 s0, 0, v11
	v_mul_f16_e32 v11, v58, v13
	v_lshrrev_b32_e32 v13, 8, v12
	v_bfe_u32 v20, v12, 20, 11
	v_and_or_b32 v22, 0x8000, v22, v15
	s_wait_alu 0xf1ff
	v_cndmask_b32_e64 v6, 0, 1, s0
	v_cmp_ne_u32_e64 s0, v5, v25
	v_fma_f16 v11, v55, v24, -v11
	v_lshl_or_b32 v24, v21, 12, v7
	s_delay_alu instid0(VALU_DEP_4)
	v_and_or_b32 v13, 0xffe, v13, v6
	s_wait_alu 0xf1ff
	v_cndmask_b32_e64 v5, 0, 1, s0
	v_cvt_f32_f16_e32 v11, v11
	v_add_co_u32 v3, s0, v0, v3
	v_sub_nc_u32_e32 v6, 0x3f1, v20
	s_wait_alu 0xf1ff
	v_add_co_ci_u32_e64 v4, s0, v1, v4, s0
	v_or_b32_e32 v23, v23, v5
	v_cvt_f64_f32_e32 v[15:16], v11
	v_cmp_gt_i32_e64 s0, 1, v21
	v_or_b32_e32 v25, 0x1000, v13
	v_med3_i32 v29, v6, 0, 13
	v_mul_f64_e32 v[5:6], s[8:9], v[17:18]
	v_lshl_or_b32 v11, v22, 16, v26
	s_wait_alu 0xf1ff
	v_cndmask_b32_e64 v17, v24, v23, s0
	v_add_co_u32 v9, s0, v9, s10
	v_lshrrev_b32_e32 v18, v29, v25
	global_store_b32 v[3:4], v19, off
	v_and_b32_e32 v22, 7, v17
	s_wait_alu 0xf1ff
	v_add_co_ci_u32_e64 v10, s0, s11, v10, s0
	v_lshlrev_b32_e32 v3, v29, v18
	v_lshrrev_b32_e32 v4, 2, v17
	v_cmp_lt_i32_e64 s0, 5, v22
	v_cmp_eq_u32_e64 s1, 3, v22
	global_store_b32 v[9:10], v11, off
	v_cmp_ne_u32_e64 s2, v3, v25
	v_add_nc_u32_e32 v11, 0xfffffc10, v20
	v_lshrrev_b32_e32 v19, 16, v14
	s_or_b32 s0, s1, s0
	v_lshrrev_b32_e32 v25, 16, v8
	s_wait_alu 0xfffe
	v_add_co_ci_u32_e64 v4, s0, 0, v4, s0
	v_cndmask_b32_e64 v3, 0, 1, s2
	v_cmp_ne_u32_e64 s0, 0, v7
	v_lshl_or_b32 v17, v11, 12, v13
	v_lshrrev_b32_e32 v29, 16, v12
	s_delay_alu instid0(VALU_DEP_4) | instskip(SKIP_4) | instid1(VALU_DEP_3)
	v_or_b32_e32 v3, v18, v3
	s_wait_alu 0xf1ff
	v_cndmask_b32_e64 v7, 0, 1, s0
	v_cmp_gt_i32_e64 s0, 1, v11
	v_mul_f16_e32 v18, v56, v19
	v_lshl_or_b32 v7, v7, 9, 0x7c00
	s_wait_alu 0xf1ff
	s_delay_alu instid0(VALU_DEP_3)
	v_cndmask_b32_e64 v17, v17, v3, s0
	v_cmp_gt_i32_e64 s0, 31, v21
	v_fmac_f16_e32 v18, v52, v14
	v_mul_f16_e32 v14, v56, v14
	v_and_or_b32 v5, 0x1ff, v6, v5
	v_and_b32_e32 v22, 7, v17
	s_wait_alu 0xf1ff
	v_cndmask_b32_e64 v20, 0x7c00, v4, s0
	v_mul_f64_e32 v[3:4], s[8:9], v[15:16]
	v_cmp_eq_u32_e64 s0, 0x40f, v21
	v_cmp_ne_u32_e64 s1, 0, v5
	v_bfe_u32 v21, v6, 20, 11
	s_wait_alu 0xf1ff
	s_delay_alu instid0(VALU_DEP_3)
	v_cndmask_b32_e64 v20, v20, v7, s0
	v_cvt_f32_f16_e32 v7, v18
	v_cndmask_b32_e64 v5, 0, 1, s1
	v_lshrrev_b32_e32 v18, 8, v6
	v_cmp_lt_i32_e64 s0, 5, v22
	v_cmp_eq_u32_e64 s1, 3, v22
	v_cvt_f64_f32_e32 v[15:16], v7
	v_lshrrev_b32_e32 v7, 2, v17
	v_and_or_b32 v22, 0xffe, v18, v5
	v_sub_nc_u32_e32 v5, 0x3f1, v21
	s_or_b32 s0, s1, s0
	v_mad_co_u64_u32 v[17:18], null, s4, v51, 0
	s_wait_alu 0xfffe
	v_add_co_ci_u32_e64 v7, s0, 0, v7, s0
	v_or_b32_e32 v23, 0x1000, v22
	v_med3_i32 v5, v5, 0, 13
	v_cmp_ne_u32_e64 s0, 0, v13
	s_delay_alu instid0(VALU_DEP_2) | instskip(SKIP_1) | instid1(VALU_DEP_2)
	v_lshrrev_b32_e32 v24, v5, v23
	s_wait_alu 0xf1ff
	v_cndmask_b32_e64 v13, 0, 1, s0
	v_cmp_gt_i32_e64 s0, 31, v11
	s_delay_alu instid0(VALU_DEP_3) | instskip(NEXT) | instid1(VALU_DEP_3)
	v_lshlrev_b32_e32 v8, v5, v24
	v_lshl_or_b32 v13, v13, 9, 0x7c00
	s_wait_alu 0xf1ff
	s_delay_alu instid0(VALU_DEP_3)
	v_cndmask_b32_e64 v7, 0x7c00, v7, s0
	v_cmp_eq_u32_e64 s0, 0x40f, v11
	v_mov_b32_e32 v5, v18
	v_and_or_b32 v3, 0x1ff, v4, v3
	v_lshrrev_b32_e32 v18, 8, v4
	s_wait_alu 0xf1ff
	v_cndmask_b32_e64 v26, v7, v13, s0
	v_fma_f16 v7, v52, v19, -v14
	v_cmp_ne_u32_e64 s0, v8, v23
	v_add_nc_u32_e32 v19, 0xfffffc10, v21
	v_lshrrev_b32_e32 v23, 16, v2
	s_delay_alu instid0(VALU_DEP_4)
	v_cvt_f32_f16_e32 v12, v7
	s_wait_alu 0xf1ff
	v_cndmask_b32_e64 v11, 0, 1, s0
	v_cmp_ne_u32_e64 s0, 0, v3
	v_mad_co_u64_u32 v[7:8], null, s5, v51, v[5:6]
	v_lshl_or_b32 v8, v19, 12, v22
	s_delay_alu instid0(VALU_DEP_4)
	v_or_b32_e32 v5, v24, v11
	v_cvt_f64_f32_e32 v[11:12], v12
	s_wait_alu 0xf1ff
	v_cndmask_b32_e64 v3, 0, 1, s0
	v_mul_f64_e32 v[13:14], s[8:9], v[15:16]
	v_cmp_gt_i32_e64 s0, 1, v19
	v_bfe_u32 v15, v4, 20, 11
	v_and_or_b32 v16, 0x8000, v29, v26
	v_mul_f16_e32 v24, v53, v23
	v_lshrrev_b32_e32 v4, 16, v4
	s_wait_alu 0xf1ff
	v_cndmask_b32_e64 v5, v8, v5, s0
	v_and_or_b32 v8, 0x8000, v25, v20
	v_and_or_b32 v20, 0xffe, v18, v3
	v_sub_nc_u32_e32 v3, 0x3f1, v15
	s_delay_alu instid0(VALU_DEP_4) | instskip(SKIP_1) | instid1(VALU_DEP_4)
	v_dual_mov_b32 v18, v7 :: v_dual_and_b32 v21, 7, v5
	v_lshrrev_b32_e32 v5, 2, v5
	v_or_b32_e32 v7, 0x1000, v20
	s_delay_alu instid0(VALU_DEP_4)
	v_med3_i32 v3, v3, 0, 13
	v_and_b32_e32 v8, 0xffff, v8
	v_cmp_lt_i32_e64 s0, 5, v21
	v_cmp_eq_u32_e64 s1, 3, v21
	v_add_nc_u32_e32 v15, 0xfffffc10, v15
	v_lshrrev_b32_e32 v21, v3, v7
	v_lshl_or_b32 v16, v16, 16, v8
	v_fmac_f16_e32 v24, v50, v2
	s_or_b32 s0, s1, s0
	v_mul_f16_e32 v2, v53, v2
	s_wait_alu 0xfffe
	v_add_co_ci_u32_e64 v5, s0, 0, v5, s0
	v_lshlrev_b32_e32 v3, v3, v21
	v_cmp_gt_i32_e64 s0, 31, v19
	v_fma_f16 v2, v50, v23, -v2
	v_lshrrev_b32_e32 v23, 16, v6
	s_wait_alu 0xf1ff
	s_delay_alu instid0(VALU_DEP_3)
	v_cndmask_b32_e64 v5, 0x7c00, v5, s0
	v_cmp_ne_u32_e64 s0, v3, v7
	v_cvt_f32_f16_e32 v2, v2
	v_mul_f64_e32 v[7:8], s[8:9], v[11:12]
	v_lshl_or_b32 v11, v15, 12, v20
	s_wait_alu 0xf1ff
	v_cndmask_b32_e64 v3, 0, 1, s0
	v_cmp_ne_u32_e64 s0, 0, v22
	v_and_or_b32 v13, 0x1ff, v14, v13
	v_cvt_f32_f16_e32 v12, v24
	v_bfe_u32 v24, v14, 20, 11
	v_or_b32_e32 v3, v21, v3
	s_wait_alu 0xf1ff
	v_cndmask_b32_e64 v22, 0, 1, s0
	v_cmp_gt_i32_e64 s0, 1, v15
	s_delay_alu instid0(VALU_DEP_2) | instskip(SKIP_1) | instid1(VALU_DEP_2)
	v_lshl_or_b32 v21, v22, 9, 0x7c00
	s_wait_alu 0xf1ff
	v_cndmask_b32_e64 v22, v11, v3, s0
	v_cmp_ne_u32_e64 s0, 0, v13
	v_cvt_f64_f32_e32 v[11:12], v12
	v_lshrrev_b32_e32 v13, 8, v14
	v_lshrrev_b32_e32 v14, 16, v14
	s_wait_alu 0xf1ff
	v_cndmask_b32_e64 v3, 0, 1, s0
	v_cmp_eq_u32_e64 s0, 0x40f, v19
	s_delay_alu instid0(VALU_DEP_2) | instskip(SKIP_1) | instid1(VALU_DEP_2)
	v_and_or_b32 v13, 0xffe, v13, v3
	s_wait_alu 0xf1ff
	v_cndmask_b32_e64 v19, v5, v21, s0
	v_and_b32_e32 v5, 7, v22
	v_sub_nc_u32_e32 v21, 0x3f1, v24
	v_cvt_f64_f32_e32 v[2:3], v2
	v_or_b32_e32 v25, 0x1000, v13
	s_delay_alu instid0(VALU_DEP_4)
	v_cmp_lt_i32_e64 s0, 5, v5
	v_cmp_eq_u32_e64 s1, 3, v5
	v_lshlrev_b64_e32 v[5:6], 2, v[17:18]
	v_lshrrev_b32_e32 v17, 2, v22
	v_med3_i32 v21, v21, 0, 13
	v_and_or_b32 v18, 0x8000, v23, v19
	s_or_b32 s0, s1, s0
	v_and_or_b32 v7, 0x1ff, v8, v7
	s_wait_alu 0xfffe
	v_add_co_ci_u32_e64 v17, s0, 0, v17, s0
	v_lshrrev_b32_e32 v19, v21, v25
	v_cmp_ne_u32_e64 s0, 0, v20
	v_add_nc_u32_e32 v22, 0xfffffc10, v24
	v_lshrrev_b32_e32 v23, 8, v8
	v_bfe_u32 v24, v8, 20, 11
	v_lshlrev_b32_e32 v21, v21, v19
	s_wait_alu 0xf1ff
	v_cndmask_b32_e64 v20, 0, 1, s0
	v_cmp_gt_i32_e64 s0, 31, v15
	v_and_b32_e32 v18, 0xffff, v18
	s_delay_alu instid0(VALU_DEP_3) | instskip(SKIP_1) | instid1(VALU_DEP_3)
	v_lshl_or_b32 v20, v20, 9, 0x7c00
	s_wait_alu 0xf1ff
	v_cndmask_b32_e64 v17, 0x7c00, v17, s0
	v_cmp_ne_u32_e64 s0, v21, v25
	v_mul_f64_e32 v[11:12], s[8:9], v[11:12]
	s_wait_alu 0xf1ff
	s_delay_alu instid0(VALU_DEP_2) | instskip(SKIP_2) | instid1(VALU_DEP_1)
	v_cndmask_b32_e64 v21, 0, 1, s0
	v_cmp_ne_u32_e64 s0, 0, v7
	s_wait_alu 0xf1ff
	v_cndmask_b32_e64 v7, 0, 1, s0
	v_cmp_eq_u32_e64 s0, 0x40f, v15
	v_mul_f64_e32 v[2:3], s[8:9], v[2:3]
	s_delay_alu instid0(VALU_DEP_3) | instskip(SKIP_1) | instid1(VALU_DEP_3)
	v_and_or_b32 v7, 0xffe, v23, v7
	s_wait_alu 0xf1ff
	v_cndmask_b32_e64 v15, v17, v20, s0
	v_or_b32_e32 v17, v19, v21
	v_lshl_or_b32 v19, v22, 12, v13
	v_cmp_gt_i32_e64 s0, 1, v22
	v_sub_nc_u32_e32 v20, 0x3f1, v24
	v_and_or_b32 v15, 0x8000, v4, v15
	s_wait_alu 0xf1ff
	s_delay_alu instid0(VALU_DEP_3) | instskip(SKIP_3) | instid1(VALU_DEP_4)
	v_cndmask_b32_e64 v17, v19, v17, s0
	v_or_b32_e32 v19, 0x1000, v7
	v_med3_i32 v20, v20, 0, 13
	v_add_co_u32 v4, s0, v0, v5
	v_and_b32_e32 v21, 7, v17
	s_wait_alu 0xf1ff
	v_add_co_ci_u32_e64 v5, s0, v1, v6, s0
	v_lshrrev_b32_e32 v23, v20, v19
	v_lshrrev_b32_e32 v17, 2, v17
	v_cmp_lt_i32_e64 s0, 5, v21
	v_cmp_eq_u32_e64 s1, 3, v21
	v_lshl_or_b32 v15, v15, 16, v18
	v_lshlrev_b32_e32 v6, v20, v23
	v_add_nc_u32_e32 v18, 0xfffffc10, v24
	v_and_or_b32 v11, 0x1ff, v12, v11
	s_or_b32 s0, s1, s0
	v_bfe_u32 v20, v12, 20, 11
	s_wait_alu 0xfffe
	v_add_co_ci_u32_e64 v17, s0, 0, v17, s0
	v_cmp_ne_u32_e64 s2, v6, v19
	v_cmp_ne_u32_e64 s0, 0, v13
	v_lshl_or_b32 v19, v18, 12, v7
	s_wait_alu 0xf1ff
	s_delay_alu instid0(VALU_DEP_3) | instskip(NEXT) | instid1(VALU_DEP_3)
	v_cndmask_b32_e64 v6, 0, 1, s2
	v_cndmask_b32_e64 v13, 0, 1, s0
	v_cmp_gt_i32_e64 s0, 31, v22
	v_and_or_b32 v2, 0x1ff, v3, v2
	s_delay_alu instid0(VALU_DEP_4) | instskip(NEXT) | instid1(VALU_DEP_4)
	v_or_b32_e32 v6, v23, v6
	v_lshl_or_b32 v13, v13, 9, 0x7c00
	s_wait_alu 0xf1ff
	v_cndmask_b32_e64 v17, 0x7c00, v17, s0
	v_cmp_gt_i32_e64 s0, 1, v18
	v_cmp_ne_u32_e64 s1, 0, v2
	s_wait_alu 0xf1ff
	s_delay_alu instid0(VALU_DEP_2) | instskip(SKIP_4) | instid1(VALU_DEP_3)
	v_cndmask_b32_e64 v6, v19, v6, s0
	v_cmp_ne_u32_e64 s0, 0, v11
	v_lshrrev_b32_e32 v19, 8, v12
	v_cndmask_b32_e64 v2, 0, 1, s1
	s_wait_alu 0xf1ff
	v_cndmask_b32_e64 v11, 0, 1, s0
	v_cmp_eq_u32_e64 s0, 0x40f, v22
	v_bfe_u32 v22, v3, 20, 11
	s_delay_alu instid0(VALU_DEP_3) | instskip(SKIP_1) | instid1(VALU_DEP_3)
	v_and_or_b32 v11, 0xffe, v19, v11
	s_wait_alu 0xf1ff
	v_cndmask_b32_e64 v13, v17, v13, s0
	v_sub_nc_u32_e32 v19, 0x3f1, v20
	v_and_b32_e32 v17, 7, v6
	v_lshrrev_b32_e32 v6, 2, v6
	v_add_nc_u32_e32 v20, 0xfffffc10, v20
	v_and_or_b32 v21, 0x8000, v14, v13
	v_or_b32_e32 v13, 0x1000, v11
	v_med3_i32 v14, v19, 0, 13
	v_cmp_lt_i32_e64 s0, 5, v17
	v_cmp_eq_u32_e64 s1, 3, v17
	v_lshrrev_b32_e32 v19, 8, v3
	v_cmp_gt_i32_e64 s2, 31, v20
	v_lshrrev_b32_e32 v17, v14, v13
	s_delay_alu instid0(VALU_DEP_4) | instskip(NEXT) | instid1(VALU_DEP_3)
	s_or_b32 s0, s1, s0
	v_and_or_b32 v19, 0xffe, v19, v2
	s_wait_alu 0xfffe
	v_add_co_ci_u32_e64 v6, s0, 0, v6, s0
	v_sub_nc_u32_e32 v2, 0x3f1, v22
	v_lshlrev_b32_e32 v14, v14, v17
	v_cmp_ne_u32_e64 s0, 0, v7
	v_or_b32_e32 v23, 0x1000, v19
	v_add_nc_u32_e32 v22, 0xfffffc10, v22
	v_med3_i32 v2, v2, 0, 13
	s_wait_alu 0xf1ff
	v_cndmask_b32_e64 v7, 0, 1, s0
	v_cmp_ne_u32_e64 s0, v14, v13
	v_cmp_gt_i32_e64 s1, 1, v22
	v_lshrrev_b32_e32 v14, v2, v23
	s_delay_alu instid0(VALU_DEP_4) | instskip(SKIP_4) | instid1(VALU_DEP_3)
	v_lshl_or_b32 v25, v7, 9, 0x7c00
	s_wait_alu 0xf1ff
	v_cndmask_b32_e64 v13, 0, 1, s0
	v_cmp_gt_i32_e64 s0, 31, v18
	v_lshlrev_b32_e32 v2, v2, v14
	v_or_b32_e32 v13, v17, v13
	s_wait_alu 0xf1ff
	s_delay_alu instid0(VALU_DEP_3) | instskip(SKIP_4) | instid1(VALU_DEP_2)
	v_cndmask_b32_e64 v24, 0x7c00, v6, s0
	v_lshl_or_b32 v17, v20, 12, v11
	v_cmp_gt_i32_e64 s0, 1, v20
	v_mad_co_u64_u32 v[6:7], null, s4, v48, 0
	s_wait_alu 0xf1ff
	v_cndmask_b32_e64 v17, v17, v13, s0
	v_cmp_ne_u32_e64 s0, v2, v23
	s_delay_alu instid0(VALU_DEP_2) | instskip(SKIP_1) | instid1(VALU_DEP_2)
	v_dual_mov_b32 v2, v7 :: v_dual_and_b32 v7, 7, v17
	s_wait_alu 0xf1ff
	v_cndmask_b32_e64 v13, 0, 1, s0
	v_cmp_eq_u32_e64 s0, 0x40f, v18
	s_delay_alu instid0(VALU_DEP_2) | instskip(SKIP_1) | instid1(VALU_DEP_2)
	v_or_b32_e32 v23, v14, v13
	s_wait_alu 0xf1ff
	v_cndmask_b32_e64 v18, v24, v25, s0
	v_lshl_or_b32 v24, v22, 12, v19
	v_mad_co_u64_u32 v[13:14], null, s5, v48, v[2:3]
	v_lshrrev_b32_e32 v2, 16, v8
	v_cmp_lt_i32_e64 s0, 5, v7
	s_delay_alu instid0(VALU_DEP_4) | instskip(SKIP_1) | instid1(VALU_DEP_4)
	v_cndmask_b32_e64 v8, v24, v23, s1
	v_cmp_eq_u32_e64 s1, 3, v7
	v_and_or_b32 v14, 0x8000, v2, v18
	v_mov_b32_e32 v7, v13
	v_lshrrev_b32_e32 v2, 2, v17
	s_delay_alu instid0(VALU_DEP_4)
	s_or_b32 s0, s1, s0
	v_and_b32_e32 v13, 7, v8
	v_lshrrev_b32_e32 v8, 2, v8
	v_lshlrev_b64_e32 v[6:7], 2, v[6:7]
	s_wait_alu 0xfffe
	v_add_co_ci_u32_e64 v2, s0, 0, v2, s0
	v_cmp_ne_u32_e64 s0, 0, v11
	v_cmp_eq_u32_e64 s1, 3, v13
	s_delay_alu instid0(VALU_DEP_3) | instskip(SKIP_1) | instid1(VALU_DEP_3)
	v_cndmask_b32_e64 v2, 0x7c00, v2, s2
	s_wait_alu 0xf1ff
	v_cndmask_b32_e64 v11, 0, 1, s0
	v_cmp_lt_i32_e64 s0, 5, v13
	s_delay_alu instid0(VALU_DEP_2) | instskip(NEXT) | instid1(VALU_DEP_2)
	v_lshl_or_b32 v11, v11, 9, 0x7c00
	s_or_b32 s0, s1, s0
	s_wait_alu 0xfffe
	v_add_co_ci_u32_e64 v8, s0, 0, v8, s0
	v_cmp_ne_u32_e64 s0, 0, v19
	s_wait_alu 0xf1ff
	s_delay_alu instid0(VALU_DEP_1) | instskip(SKIP_2) | instid1(VALU_DEP_1)
	v_cndmask_b32_e64 v13, 0, 1, s0
	v_cmp_eq_u32_e64 s0, 0x40f, v20
	s_wait_alu 0xf1ff
	v_cndmask_b32_e64 v2, v2, v11, s0
	v_cmp_gt_i32_e64 s0, 31, v22
	v_lshrrev_b32_e32 v11, 16, v12
	v_lshl_or_b32 v12, v13, 9, 0x7c00
	v_and_b32_e32 v13, 0xffff, v21
	s_wait_alu 0xf1ff
	v_cndmask_b32_e64 v8, 0x7c00, v8, s0
	v_cmp_eq_u32_e64 s0, 0x40f, v22
	v_and_or_b32 v11, 0x8000, v11, v2
	s_wait_alu 0xf1ff
	s_delay_alu instid0(VALU_DEP_2)
	v_cndmask_b32_e64 v8, v8, v12, s0
	v_add_co_u32 v2, s0, v9, s10
	v_lshrrev_b32_e32 v12, 16, v3
	s_wait_alu 0xf1ff
	v_add_co_ci_u32_e64 v3, s0, s11, v10, s0
	v_add_co_u32 v6, s0, v0, v6
	s_wait_alu 0xf1ff
	v_add_co_ci_u32_e64 v7, s0, v1, v7, s0
	v_and_or_b32 v8, 0x8000, v12, v8
	v_and_b32_e32 v10, 0xffff, v11
	v_add_co_u32 v0, s0, v2, s10
	s_wait_alu 0xf1ff
	v_add_co_ci_u32_e64 v1, s0, s11, v3, s0
	v_lshl_or_b32 v9, v14, 16, v13
	v_lshl_or_b32 v8, v8, 16, v10
	s_clause 0x2
	global_store_b32 v[4:5], v16, off
	global_store_b32 v[2:3], v15, off
	;; [unrolled: 1-line block ×4, first 2 shown]
	s_and_b32 exec_lo, exec_lo, vcc_lo
	s_cbranch_execz .LBB0_23
; %bb.22:
	global_load_b32 v5, v[27:28], off offset:480
	v_add_nc_u32_e32 v2, 0xe0, v49
	v_mad_co_u64_u32 v[0:1], null, 0xffffe6e0, s4, v[0:1]
	ds_load_2addr_stride64_b32 v[3:4], v2 offset0:1 offset1:4
	s_wait_dscnt 0x0
	v_lshrrev_b32_e32 v6, 16, v3
	s_wait_loadcnt 0x0
	v_lshrrev_b32_e32 v7, 16, v5
	s_delay_alu instid0(VALU_DEP_1) | instskip(SKIP_1) | instid1(VALU_DEP_2)
	v_mul_f16_e32 v8, v6, v7
	v_mul_f16_e32 v7, v3, v7
	v_fmac_f16_e32 v8, v3, v5
	s_delay_alu instid0(VALU_DEP_2) | instskip(NEXT) | instid1(VALU_DEP_2)
	v_fma_f16 v3, v5, v6, -v7
	v_cvt_f32_f16_e32 v5, v8
	s_delay_alu instid0(VALU_DEP_2) | instskip(NEXT) | instid1(VALU_DEP_2)
	v_cvt_f32_f16_e32 v3, v3
	v_cvt_f64_f32_e32 v[5:6], v5
	s_delay_alu instid0(VALU_DEP_2) | instskip(NEXT) | instid1(VALU_DEP_2)
	v_cvt_f64_f32_e32 v[7:8], v3
	v_mul_f64_e32 v[5:6], s[8:9], v[5:6]
	s_delay_alu instid0(VALU_DEP_2) | instskip(NEXT) | instid1(VALU_DEP_2)
	v_mul_f64_e32 v[7:8], s[8:9], v[7:8]
	v_and_or_b32 v3, 0x1ff, v6, v5
	s_delay_alu instid0(VALU_DEP_2)
	v_and_or_b32 v7, 0x1ff, v8, v7
	v_lshrrev_b32_e32 v5, 8, v6
	v_bfe_u32 v9, v6, 20, 11
	v_lshrrev_b32_e32 v10, 8, v8
	v_cmp_ne_u32_e32 vcc_lo, 0, v3
	v_bfe_u32 v11, v8, 20, 11
	v_lshrrev_b32_e32 v6, 16, v6
	v_sub_nc_u32_e32 v12, 0x3f1, v9
	v_add_nc_u32_e32 v9, 0xfffffc10, v9
	s_wait_alu 0xfffd
	v_cndmask_b32_e64 v3, 0, 1, vcc_lo
	v_cmp_ne_u32_e32 vcc_lo, 0, v7
	v_lshrrev_b32_e32 v8, 16, v8
	s_delay_alu instid0(VALU_DEP_3) | instskip(SKIP_4) | instid1(VALU_DEP_3)
	v_and_or_b32 v3, 0xffe, v5, v3
	s_wait_alu 0xfffd
	v_cndmask_b32_e64 v7, 0, 1, vcc_lo
	v_sub_nc_u32_e32 v5, 0x3f1, v11
	v_add_nc_u32_e32 v11, 0xfffffc10, v11
	v_and_or_b32 v7, 0xffe, v10, v7
	v_med3_i32 v10, v12, 0, 13
	v_or_b32_e32 v12, 0x1000, v3
	v_med3_i32 v5, v5, 0, 13
	s_delay_alu instid0(VALU_DEP_4) | instskip(NEXT) | instid1(VALU_DEP_3)
	v_or_b32_e32 v13, 0x1000, v7
	v_lshrrev_b32_e32 v14, v10, v12
	s_delay_alu instid0(VALU_DEP_2) | instskip(NEXT) | instid1(VALU_DEP_2)
	v_lshrrev_b32_e32 v15, v5, v13
	v_lshlrev_b32_e32 v10, v10, v14
	s_delay_alu instid0(VALU_DEP_1) | instskip(SKIP_3) | instid1(VALU_DEP_1)
	v_cmp_ne_u32_e32 vcc_lo, v10, v12
	v_lshl_or_b32 v12, v9, 12, v3
	s_wait_alu 0xfffd
	v_cndmask_b32_e64 v10, 0, 1, vcc_lo
	v_or_b32_e32 v10, v14, v10
	v_lshlrev_b32_e32 v5, v5, v15
	s_delay_alu instid0(VALU_DEP_1) | instskip(SKIP_4) | instid1(VALU_DEP_2)
	v_cmp_ne_u32_e32 vcc_lo, v5, v13
	v_lshl_or_b32 v13, v11, 12, v7
	s_wait_alu 0xfffd
	v_cndmask_b32_e64 v5, 0, 1, vcc_lo
	v_cmp_gt_i32_e32 vcc_lo, 1, v9
	v_or_b32_e32 v5, v15, v5
	s_wait_alu 0xfffd
	v_cndmask_b32_e32 v10, v12, v10, vcc_lo
	v_cmp_gt_i32_e32 vcc_lo, 1, v11
	s_wait_alu 0xfffd
	s_delay_alu instid0(VALU_DEP_2) | instskip(SKIP_2) | instid1(VALU_DEP_3)
	v_dual_cndmask_b32 v5, v13, v5 :: v_dual_and_b32 v12, 7, v10
	v_cmp_ne_u32_e32 vcc_lo, 0, v3
	v_lshrrev_b32_e32 v10, 2, v10
	v_cmp_eq_u32_e64 s0, 3, v12
	s_wait_alu 0xfffd
	v_cndmask_b32_e64 v3, 0, 1, vcc_lo
	v_cmp_ne_u32_e32 vcc_lo, 0, v7
	s_delay_alu instid0(VALU_DEP_2) | instskip(SKIP_3) | instid1(VALU_DEP_2)
	v_lshl_or_b32 v3, v3, 9, 0x7c00
	s_wait_alu 0xfffd
	v_cndmask_b32_e64 v7, 0, 1, vcc_lo
	v_cmp_lt_i32_e32 vcc_lo, 5, v12
	v_lshl_or_b32 v7, v7, 9, 0x7c00
	s_or_b32 vcc_lo, s0, vcc_lo
	s_mul_i32 s0, s5, 0xffffe6e0
	s_wait_alu 0xfffe
	v_add_co_ci_u32_e32 v10, vcc_lo, 0, v10, vcc_lo
	v_and_b32_e32 v13, 7, v5
	v_lshrrev_b32_e32 v5, 2, v5
	s_sub_co_i32 s0, s0, s4
	s_wait_alu 0xfffe
	v_add_nc_u32_e32 v1, s0, v1
	v_cmp_lt_i32_e64 s1, 5, v13
	v_cmp_eq_u32_e64 s2, 3, v13
	s_delay_alu instid0(VALU_DEP_1)
	s_or_b32 vcc_lo, s2, s1
	s_wait_alu 0xfffe
	v_add_co_ci_u32_e32 v5, vcc_lo, 0, v5, vcc_lo
	v_cmp_gt_i32_e32 vcc_lo, 31, v9
	s_wait_alu 0xfffd
	v_cndmask_b32_e32 v10, 0x7c00, v10, vcc_lo
	v_cmp_gt_i32_e32 vcc_lo, 31, v11
	s_wait_alu 0xfffd
	v_cndmask_b32_e32 v5, 0x7c00, v5, vcc_lo
	v_cmp_eq_u32_e32 vcc_lo, 0x40f, v9
	s_wait_alu 0xfffd
	v_cndmask_b32_e32 v3, v10, v3, vcc_lo
	v_cmp_eq_u32_e32 vcc_lo, 0x40f, v11
	s_delay_alu instid0(VALU_DEP_2) | instskip(SKIP_2) | instid1(VALU_DEP_2)
	v_and_or_b32 v3, 0x8000, v6, v3
	s_wait_alu 0xfffd
	v_cndmask_b32_e32 v5, v5, v7, vcc_lo
	v_and_b32_e32 v3, 0xffff, v3
	s_delay_alu instid0(VALU_DEP_2) | instskip(NEXT) | instid1(VALU_DEP_1)
	v_and_or_b32 v5, 0x8000, v8, v5
	v_lshl_or_b32 v3, v5, 16, v3
	v_lshrrev_b32_e32 v5, 16, v4
	global_store_b32 v[0:1], v3, off
	global_load_b32 v3, v[27:28], off offset:1248
	s_wait_loadcnt 0x0
	v_lshrrev_b32_e32 v6, 16, v3
	s_delay_alu instid0(VALU_DEP_1) | instskip(SKIP_1) | instid1(VALU_DEP_2)
	v_mul_f16_e32 v7, v5, v6
	v_mul_f16_e32 v6, v4, v6
	v_fmac_f16_e32 v7, v4, v3
	s_delay_alu instid0(VALU_DEP_2) | instskip(NEXT) | instid1(VALU_DEP_2)
	v_fma_f16 v3, v3, v5, -v6
	v_cvt_f32_f16_e32 v4, v7
	s_delay_alu instid0(VALU_DEP_2) | instskip(NEXT) | instid1(VALU_DEP_2)
	v_cvt_f32_f16_e32 v5, v3
	v_cvt_f64_f32_e32 v[3:4], v4
	s_delay_alu instid0(VALU_DEP_2) | instskip(NEXT) | instid1(VALU_DEP_2)
	v_cvt_f64_f32_e32 v[5:6], v5
	v_mul_f64_e32 v[3:4], s[8:9], v[3:4]
	s_delay_alu instid0(VALU_DEP_2) | instskip(NEXT) | instid1(VALU_DEP_2)
	v_mul_f64_e32 v[5:6], s[8:9], v[5:6]
	v_and_or_b32 v3, 0x1ff, v4, v3
	s_delay_alu instid0(VALU_DEP_2)
	v_and_or_b32 v5, 0x1ff, v6, v5
	v_lshrrev_b32_e32 v7, 8, v4
	v_bfe_u32 v8, v4, 20, 11
	v_lshrrev_b32_e32 v9, 8, v6
	v_cmp_ne_u32_e32 vcc_lo, 0, v3
	v_bfe_u32 v10, v6, 20, 11
	v_lshrrev_b32_e32 v4, 16, v4
	v_sub_nc_u32_e32 v11, 0x3f1, v8
	v_add_nc_u32_e32 v8, 0xfffffc10, v8
	s_wait_alu 0xfffd
	v_cndmask_b32_e64 v3, 0, 1, vcc_lo
	v_cmp_ne_u32_e32 vcc_lo, 0, v5
	v_lshrrev_b32_e32 v6, 16, v6
	s_delay_alu instid0(VALU_DEP_3) | instskip(SKIP_3) | instid1(VALU_DEP_2)
	v_and_or_b32 v3, 0xffe, v7, v3
	s_wait_alu 0xfffd
	v_cndmask_b32_e64 v5, 0, 1, vcc_lo
	v_sub_nc_u32_e32 v7, 0x3f1, v10
	v_and_or_b32 v5, 0xffe, v9, v5
	v_med3_i32 v9, v11, 0, 13
	v_or_b32_e32 v11, 0x1000, v3
	s_delay_alu instid0(VALU_DEP_4) | instskip(NEXT) | instid1(VALU_DEP_4)
	v_med3_i32 v7, v7, 0, 13
	v_or_b32_e32 v12, 0x1000, v5
	s_delay_alu instid0(VALU_DEP_3) | instskip(NEXT) | instid1(VALU_DEP_2)
	v_lshrrev_b32_e32 v13, v9, v11
	v_lshrrev_b32_e32 v14, v7, v12
	s_delay_alu instid0(VALU_DEP_2) | instskip(NEXT) | instid1(VALU_DEP_2)
	v_lshlrev_b32_e32 v9, v9, v13
	v_lshlrev_b32_e32 v7, v7, v14
	s_delay_alu instid0(VALU_DEP_2) | instskip(SKIP_4) | instid1(VALU_DEP_2)
	v_cmp_ne_u32_e32 vcc_lo, v9, v11
	v_lshl_or_b32 v11, v8, 12, v3
	s_wait_alu 0xfffd
	v_cndmask_b32_e64 v9, 0, 1, vcc_lo
	v_cmp_ne_u32_e32 vcc_lo, v7, v12
	v_or_b32_e32 v9, v13, v9
	s_wait_alu 0xfffd
	v_cndmask_b32_e64 v7, 0, 1, vcc_lo
	v_cmp_gt_i32_e32 vcc_lo, 1, v8
	v_add_nc_u32_e32 v10, 0xfffffc10, v10
	s_delay_alu instid0(VALU_DEP_3) | instskip(SKIP_2) | instid1(VALU_DEP_3)
	v_or_b32_e32 v7, v14, v7
	s_wait_alu 0xfffd
	v_cndmask_b32_e32 v9, v11, v9, vcc_lo
	v_lshl_or_b32 v12, v10, 12, v5
	v_cmp_gt_i32_e32 vcc_lo, 1, v10
	s_delay_alu instid0(VALU_DEP_3)
	v_and_b32_e32 v11, 7, v9
	v_lshrrev_b32_e32 v9, 2, v9
	s_wait_alu 0xfffd
	v_cndmask_b32_e32 v7, v12, v7, vcc_lo
	v_cmp_ne_u32_e32 vcc_lo, 0, v3
	v_cmp_eq_u32_e64 s0, 3, v11
	s_wait_alu 0xfffd
	v_cndmask_b32_e64 v3, 0, 1, vcc_lo
	v_cmp_ne_u32_e32 vcc_lo, 0, v5
	s_delay_alu instid0(VALU_DEP_2) | instskip(SKIP_3) | instid1(VALU_DEP_2)
	v_lshl_or_b32 v3, v3, 9, 0x7c00
	s_wait_alu 0xfffd
	v_cndmask_b32_e64 v5, 0, 1, vcc_lo
	v_cmp_lt_i32_e32 vcc_lo, 5, v11
	v_lshl_or_b32 v5, v5, 9, 0x7c00
	s_or_b32 vcc_lo, s0, vcc_lo
	s_wait_alu 0xfffe
	v_add_co_ci_u32_e32 v9, vcc_lo, 0, v9, vcc_lo
	v_and_b32_e32 v12, 7, v7
	v_lshrrev_b32_e32 v7, 2, v7
	s_delay_alu instid0(VALU_DEP_2) | instskip(SKIP_1) | instid1(VALU_DEP_1)
	v_cmp_lt_i32_e64 s1, 5, v12
	v_cmp_eq_u32_e64 s2, 3, v12
	s_or_b32 vcc_lo, s2, s1
	s_wait_alu 0xfffe
	v_add_co_ci_u32_e32 v7, vcc_lo, 0, v7, vcc_lo
	v_cmp_gt_i32_e32 vcc_lo, 31, v8
	s_wait_alu 0xfffd
	v_cndmask_b32_e32 v9, 0x7c00, v9, vcc_lo
	v_cmp_gt_i32_e32 vcc_lo, 31, v10
	s_wait_alu 0xfffd
	v_cndmask_b32_e32 v7, 0x7c00, v7, vcc_lo
	v_cmp_eq_u32_e32 vcc_lo, 0x40f, v8
	s_wait_alu 0xfffd
	v_cndmask_b32_e32 v3, v9, v3, vcc_lo
	v_cmp_eq_u32_e32 vcc_lo, 0x40f, v10
	s_delay_alu instid0(VALU_DEP_2)
	v_and_or_b32 v3, 0x8000, v4, v3
	s_wait_alu 0xfffd
	v_cndmask_b32_e32 v5, v7, v5, vcc_lo
	v_add_co_u32 v0, vcc_lo, v0, s6
	s_wait_alu 0xfffd
	v_add_co_ci_u32_e32 v1, vcc_lo, s7, v1, vcc_lo
	s_delay_alu instid0(VALU_DEP_3) | instskip(SKIP_1) | instid1(VALU_DEP_1)
	v_and_or_b32 v4, 0x8000, v6, v5
	v_and_b32_e32 v3, 0xffff, v3
	v_lshl_or_b32 v3, v4, 16, v3
	global_store_b32 v[0:1], v3, off
	global_load_b32 v5, v[27:28], off offset:2016
	ds_load_2addr_stride64_b32 v[3:4], v2 offset0:7 offset1:10
	s_wait_dscnt 0x0
	v_lshrrev_b32_e32 v6, 16, v3
	s_wait_loadcnt 0x0
	v_lshrrev_b32_e32 v7, 16, v5
	s_delay_alu instid0(VALU_DEP_1) | instskip(SKIP_1) | instid1(VALU_DEP_2)
	v_mul_f16_e32 v8, v6, v7
	v_mul_f16_e32 v7, v3, v7
	v_fmac_f16_e32 v8, v3, v5
	s_delay_alu instid0(VALU_DEP_2) | instskip(NEXT) | instid1(VALU_DEP_2)
	v_fma_f16 v3, v5, v6, -v7
	v_cvt_f32_f16_e32 v5, v8
	s_delay_alu instid0(VALU_DEP_2) | instskip(NEXT) | instid1(VALU_DEP_2)
	v_cvt_f32_f16_e32 v3, v3
	v_cvt_f64_f32_e32 v[5:6], v5
	s_delay_alu instid0(VALU_DEP_2) | instskip(NEXT) | instid1(VALU_DEP_2)
	v_cvt_f64_f32_e32 v[7:8], v3
	v_mul_f64_e32 v[5:6], s[8:9], v[5:6]
	s_delay_alu instid0(VALU_DEP_2) | instskip(NEXT) | instid1(VALU_DEP_2)
	v_mul_f64_e32 v[7:8], s[8:9], v[7:8]
	v_and_or_b32 v3, 0x1ff, v6, v5
	s_delay_alu instid0(VALU_DEP_2)
	v_and_or_b32 v7, 0x1ff, v8, v7
	v_lshrrev_b32_e32 v5, 8, v6
	v_bfe_u32 v9, v6, 20, 11
	v_lshrrev_b32_e32 v10, 8, v8
	v_cmp_ne_u32_e32 vcc_lo, 0, v3
	v_bfe_u32 v11, v8, 20, 11
	v_lshrrev_b32_e32 v6, 16, v6
	v_sub_nc_u32_e32 v12, 0x3f1, v9
	v_add_nc_u32_e32 v9, 0xfffffc10, v9
	s_wait_alu 0xfffd
	v_cndmask_b32_e64 v3, 0, 1, vcc_lo
	v_cmp_ne_u32_e32 vcc_lo, 0, v7
	v_lshrrev_b32_e32 v8, 16, v8
	s_delay_alu instid0(VALU_DEP_3) | instskip(SKIP_4) | instid1(VALU_DEP_3)
	v_and_or_b32 v3, 0xffe, v5, v3
	s_wait_alu 0xfffd
	v_cndmask_b32_e64 v7, 0, 1, vcc_lo
	v_sub_nc_u32_e32 v5, 0x3f1, v11
	v_add_nc_u32_e32 v11, 0xfffffc10, v11
	v_and_or_b32 v7, 0xffe, v10, v7
	v_med3_i32 v10, v12, 0, 13
	v_or_b32_e32 v12, 0x1000, v3
	v_med3_i32 v5, v5, 0, 13
	s_delay_alu instid0(VALU_DEP_4) | instskip(NEXT) | instid1(VALU_DEP_3)
	v_or_b32_e32 v13, 0x1000, v7
	v_lshrrev_b32_e32 v14, v10, v12
	s_delay_alu instid0(VALU_DEP_2) | instskip(NEXT) | instid1(VALU_DEP_2)
	v_lshrrev_b32_e32 v15, v5, v13
	v_lshlrev_b32_e32 v10, v10, v14
	s_delay_alu instid0(VALU_DEP_2) | instskip(NEXT) | instid1(VALU_DEP_2)
	v_lshlrev_b32_e32 v5, v5, v15
	v_cmp_ne_u32_e32 vcc_lo, v10, v12
	v_lshl_or_b32 v12, v9, 12, v3
	s_wait_alu 0xfffd
	v_cndmask_b32_e64 v10, 0, 1, vcc_lo
	v_cmp_ne_u32_e32 vcc_lo, v5, v13
	v_lshl_or_b32 v13, v11, 12, v7
	s_delay_alu instid0(VALU_DEP_3) | instskip(SKIP_3) | instid1(VALU_DEP_2)
	v_or_b32_e32 v10, v14, v10
	s_wait_alu 0xfffd
	v_cndmask_b32_e64 v5, 0, 1, vcc_lo
	v_cmp_gt_i32_e32 vcc_lo, 1, v9
	v_or_b32_e32 v5, v15, v5
	s_wait_alu 0xfffd
	v_cndmask_b32_e32 v10, v12, v10, vcc_lo
	v_cmp_gt_i32_e32 vcc_lo, 1, v11
	s_wait_alu 0xfffd
	s_delay_alu instid0(VALU_DEP_2) | instskip(SKIP_2) | instid1(VALU_DEP_3)
	v_dual_cndmask_b32 v5, v13, v5 :: v_dual_and_b32 v12, 7, v10
	v_cmp_ne_u32_e32 vcc_lo, 0, v3
	v_lshrrev_b32_e32 v10, 2, v10
	v_cmp_eq_u32_e64 s0, 3, v12
	s_delay_alu instid0(VALU_DEP_4)
	v_and_b32_e32 v13, 7, v5
	s_wait_alu 0xfffd
	v_cndmask_b32_e64 v3, 0, 1, vcc_lo
	v_cmp_ne_u32_e32 vcc_lo, 0, v7
	v_lshrrev_b32_e32 v5, 2, v5
	v_cmp_lt_i32_e64 s1, 5, v13
	v_cmp_eq_u32_e64 s2, 3, v13
	s_wait_alu 0xfffd
	v_cndmask_b32_e64 v7, 0, 1, vcc_lo
	v_cmp_lt_i32_e32 vcc_lo, 5, v12
	v_lshl_or_b32 v3, v3, 9, 0x7c00
	s_delay_alu instid0(VALU_DEP_3)
	v_lshl_or_b32 v7, v7, 9, 0x7c00
	s_or_b32 vcc_lo, s0, vcc_lo
	s_wait_alu 0xfffe
	v_add_co_ci_u32_e32 v10, vcc_lo, 0, v10, vcc_lo
	s_or_b32 vcc_lo, s2, s1
	s_wait_alu 0xfffe
	v_add_co_ci_u32_e32 v5, vcc_lo, 0, v5, vcc_lo
	v_cmp_gt_i32_e32 vcc_lo, 31, v9
	s_wait_alu 0xfffd
	v_cndmask_b32_e32 v10, 0x7c00, v10, vcc_lo
	v_cmp_gt_i32_e32 vcc_lo, 31, v11
	s_wait_alu 0xfffd
	v_cndmask_b32_e32 v5, 0x7c00, v5, vcc_lo
	v_cmp_eq_u32_e32 vcc_lo, 0x40f, v9
	s_wait_alu 0xfffd
	v_cndmask_b32_e32 v3, v10, v3, vcc_lo
	v_cmp_eq_u32_e32 vcc_lo, 0x40f, v11
	s_delay_alu instid0(VALU_DEP_2)
	v_and_or_b32 v3, 0x8000, v6, v3
	s_wait_alu 0xfffd
	v_cndmask_b32_e32 v5, v5, v7, vcc_lo
	v_add_co_u32 v0, vcc_lo, v0, s6
	s_wait_alu 0xfffd
	v_add_co_ci_u32_e32 v1, vcc_lo, s7, v1, vcc_lo
	s_delay_alu instid0(VALU_DEP_3) | instskip(SKIP_1) | instid1(VALU_DEP_1)
	v_and_or_b32 v5, 0x8000, v8, v5
	v_and_b32_e32 v3, 0xffff, v3
	v_lshl_or_b32 v3, v5, 16, v3
	v_lshrrev_b32_e32 v5, 16, v4
	global_store_b32 v[0:1], v3, off
	global_load_b32 v3, v[27:28], off offset:2784
	s_wait_loadcnt 0x0
	v_lshrrev_b32_e32 v6, 16, v3
	s_delay_alu instid0(VALU_DEP_1) | instskip(SKIP_1) | instid1(VALU_DEP_2)
	v_mul_f16_e32 v7, v5, v6
	v_mul_f16_e32 v6, v4, v6
	v_fmac_f16_e32 v7, v4, v3
	s_delay_alu instid0(VALU_DEP_2) | instskip(NEXT) | instid1(VALU_DEP_2)
	v_fma_f16 v3, v3, v5, -v6
	v_cvt_f32_f16_e32 v4, v7
	s_delay_alu instid0(VALU_DEP_2) | instskip(NEXT) | instid1(VALU_DEP_2)
	v_cvt_f32_f16_e32 v5, v3
	v_cvt_f64_f32_e32 v[3:4], v4
	s_delay_alu instid0(VALU_DEP_2) | instskip(NEXT) | instid1(VALU_DEP_2)
	v_cvt_f64_f32_e32 v[5:6], v5
	v_mul_f64_e32 v[3:4], s[8:9], v[3:4]
	s_delay_alu instid0(VALU_DEP_2) | instskip(NEXT) | instid1(VALU_DEP_2)
	v_mul_f64_e32 v[5:6], s[8:9], v[5:6]
	v_and_or_b32 v3, 0x1ff, v4, v3
	s_delay_alu instid0(VALU_DEP_2)
	v_and_or_b32 v5, 0x1ff, v6, v5
	v_lshrrev_b32_e32 v7, 8, v4
	v_bfe_u32 v8, v4, 20, 11
	v_lshrrev_b32_e32 v9, 8, v6
	v_cmp_ne_u32_e32 vcc_lo, 0, v3
	v_bfe_u32 v10, v6, 20, 11
	v_lshrrev_b32_e32 v4, 16, v4
	v_sub_nc_u32_e32 v11, 0x3f1, v8
	v_add_nc_u32_e32 v8, 0xfffffc10, v8
	s_wait_alu 0xfffd
	v_cndmask_b32_e64 v3, 0, 1, vcc_lo
	v_cmp_ne_u32_e32 vcc_lo, 0, v5
	v_lshrrev_b32_e32 v6, 16, v6
	s_delay_alu instid0(VALU_DEP_3) | instskip(SKIP_4) | instid1(VALU_DEP_3)
	v_and_or_b32 v3, 0xffe, v7, v3
	s_wait_alu 0xfffd
	v_cndmask_b32_e64 v5, 0, 1, vcc_lo
	v_sub_nc_u32_e32 v7, 0x3f1, v10
	v_add_nc_u32_e32 v10, 0xfffffc10, v10
	v_and_or_b32 v5, 0xffe, v9, v5
	v_med3_i32 v9, v11, 0, 13
	v_or_b32_e32 v11, 0x1000, v3
	v_med3_i32 v7, v7, 0, 13
	s_delay_alu instid0(VALU_DEP_4) | instskip(NEXT) | instid1(VALU_DEP_3)
	v_or_b32_e32 v12, 0x1000, v5
	v_lshrrev_b32_e32 v13, v9, v11
	s_delay_alu instid0(VALU_DEP_2) | instskip(NEXT) | instid1(VALU_DEP_2)
	v_lshrrev_b32_e32 v14, v7, v12
	v_lshlrev_b32_e32 v9, v9, v13
	s_delay_alu instid0(VALU_DEP_2) | instskip(NEXT) | instid1(VALU_DEP_2)
	v_lshlrev_b32_e32 v7, v7, v14
	v_cmp_ne_u32_e32 vcc_lo, v9, v11
	v_lshl_or_b32 v11, v8, 12, v3
	s_wait_alu 0xfffd
	v_cndmask_b32_e64 v9, 0, 1, vcc_lo
	v_cmp_ne_u32_e32 vcc_lo, v7, v12
	v_lshl_or_b32 v12, v10, 12, v5
	s_delay_alu instid0(VALU_DEP_3) | instskip(SKIP_3) | instid1(VALU_DEP_2)
	v_or_b32_e32 v9, v13, v9
	s_wait_alu 0xfffd
	v_cndmask_b32_e64 v7, 0, 1, vcc_lo
	v_cmp_gt_i32_e32 vcc_lo, 1, v8
	v_or_b32_e32 v7, v14, v7
	s_wait_alu 0xfffd
	v_cndmask_b32_e32 v9, v11, v9, vcc_lo
	v_cmp_gt_i32_e32 vcc_lo, 1, v10
	s_delay_alu instid0(VALU_DEP_2)
	v_and_b32_e32 v11, 7, v9
	s_wait_alu 0xfffd
	v_cndmask_b32_e32 v7, v12, v7, vcc_lo
	v_cmp_ne_u32_e32 vcc_lo, 0, v3
	v_lshrrev_b32_e32 v9, 2, v9
	v_cmp_eq_u32_e64 s0, 3, v11
	s_delay_alu instid0(VALU_DEP_4)
	v_and_b32_e32 v12, 7, v7
	s_wait_alu 0xfffd
	v_cndmask_b32_e64 v3, 0, 1, vcc_lo
	v_cmp_ne_u32_e32 vcc_lo, 0, v5
	v_lshrrev_b32_e32 v7, 2, v7
	v_cmp_lt_i32_e64 s1, 5, v12
	v_cmp_eq_u32_e64 s2, 3, v12
	s_wait_alu 0xfffd
	v_cndmask_b32_e64 v5, 0, 1, vcc_lo
	v_cmp_lt_i32_e32 vcc_lo, 5, v11
	v_lshl_or_b32 v3, v3, 9, 0x7c00
	s_delay_alu instid0(VALU_DEP_3)
	v_lshl_or_b32 v5, v5, 9, 0x7c00
	s_or_b32 vcc_lo, s0, vcc_lo
	s_wait_alu 0xfffe
	v_add_co_ci_u32_e32 v9, vcc_lo, 0, v9, vcc_lo
	s_or_b32 vcc_lo, s2, s1
	s_wait_alu 0xfffe
	v_add_co_ci_u32_e32 v7, vcc_lo, 0, v7, vcc_lo
	v_cmp_gt_i32_e32 vcc_lo, 31, v8
	s_wait_alu 0xfffd
	v_cndmask_b32_e32 v9, 0x7c00, v9, vcc_lo
	v_cmp_gt_i32_e32 vcc_lo, 31, v10
	s_wait_alu 0xfffd
	v_cndmask_b32_e32 v7, 0x7c00, v7, vcc_lo
	v_cmp_eq_u32_e32 vcc_lo, 0x40f, v8
	s_wait_alu 0xfffd
	v_cndmask_b32_e32 v3, v9, v3, vcc_lo
	v_cmp_eq_u32_e32 vcc_lo, 0x40f, v10
	s_delay_alu instid0(VALU_DEP_2)
	v_and_or_b32 v3, 0x8000, v4, v3
	s_wait_alu 0xfffd
	v_cndmask_b32_e32 v5, v7, v5, vcc_lo
	v_add_co_u32 v0, vcc_lo, v0, s6
	s_wait_alu 0xfffd
	v_add_co_ci_u32_e32 v1, vcc_lo, s7, v1, vcc_lo
	s_delay_alu instid0(VALU_DEP_3) | instskip(SKIP_1) | instid1(VALU_DEP_1)
	v_and_or_b32 v4, 0x8000, v6, v5
	v_and_b32_e32 v3, 0xffff, v3
	v_lshl_or_b32 v3, v4, 16, v3
	global_store_b32 v[0:1], v3, off
	global_load_b32 v5, v[27:28], off offset:3552
	ds_load_2addr_stride64_b32 v[3:4], v2 offset0:13 offset1:16
	s_wait_dscnt 0x0
	v_lshrrev_b32_e32 v6, 16, v3
	s_wait_loadcnt 0x0
	v_lshrrev_b32_e32 v7, 16, v5
	s_delay_alu instid0(VALU_DEP_1) | instskip(SKIP_1) | instid1(VALU_DEP_2)
	v_mul_f16_e32 v8, v6, v7
	v_mul_f16_e32 v7, v3, v7
	v_fmac_f16_e32 v8, v3, v5
	s_delay_alu instid0(VALU_DEP_2) | instskip(NEXT) | instid1(VALU_DEP_2)
	v_fma_f16 v3, v5, v6, -v7
	v_cvt_f32_f16_e32 v5, v8
	s_delay_alu instid0(VALU_DEP_2) | instskip(NEXT) | instid1(VALU_DEP_2)
	v_cvt_f32_f16_e32 v3, v3
	v_cvt_f64_f32_e32 v[5:6], v5
	s_delay_alu instid0(VALU_DEP_2) | instskip(NEXT) | instid1(VALU_DEP_2)
	v_cvt_f64_f32_e32 v[7:8], v3
	v_mul_f64_e32 v[5:6], s[8:9], v[5:6]
	s_delay_alu instid0(VALU_DEP_2) | instskip(NEXT) | instid1(VALU_DEP_2)
	v_mul_f64_e32 v[7:8], s[8:9], v[7:8]
	v_and_or_b32 v3, 0x1ff, v6, v5
	s_delay_alu instid0(VALU_DEP_2)
	v_and_or_b32 v7, 0x1ff, v8, v7
	v_lshrrev_b32_e32 v5, 8, v6
	v_bfe_u32 v9, v6, 20, 11
	v_lshrrev_b32_e32 v10, 8, v8
	v_cmp_ne_u32_e32 vcc_lo, 0, v3
	v_bfe_u32 v11, v8, 20, 11
	v_lshrrev_b32_e32 v6, 16, v6
	v_sub_nc_u32_e32 v12, 0x3f1, v9
	v_add_nc_u32_e32 v9, 0xfffffc10, v9
	s_wait_alu 0xfffd
	v_cndmask_b32_e64 v3, 0, 1, vcc_lo
	v_cmp_ne_u32_e32 vcc_lo, 0, v7
	v_lshrrev_b32_e32 v8, 16, v8
	s_delay_alu instid0(VALU_DEP_3) | instskip(SKIP_4) | instid1(VALU_DEP_3)
	v_and_or_b32 v3, 0xffe, v5, v3
	s_wait_alu 0xfffd
	v_cndmask_b32_e64 v7, 0, 1, vcc_lo
	v_sub_nc_u32_e32 v5, 0x3f1, v11
	v_add_nc_u32_e32 v11, 0xfffffc10, v11
	v_and_or_b32 v7, 0xffe, v10, v7
	v_med3_i32 v10, v12, 0, 13
	v_or_b32_e32 v12, 0x1000, v3
	v_med3_i32 v5, v5, 0, 13
	s_delay_alu instid0(VALU_DEP_4) | instskip(NEXT) | instid1(VALU_DEP_3)
	v_or_b32_e32 v13, 0x1000, v7
	v_lshrrev_b32_e32 v14, v10, v12
	s_delay_alu instid0(VALU_DEP_2) | instskip(NEXT) | instid1(VALU_DEP_2)
	v_lshrrev_b32_e32 v15, v5, v13
	v_lshlrev_b32_e32 v10, v10, v14
	s_delay_alu instid0(VALU_DEP_2) | instskip(NEXT) | instid1(VALU_DEP_2)
	v_lshlrev_b32_e32 v5, v5, v15
	v_cmp_ne_u32_e32 vcc_lo, v10, v12
	v_lshl_or_b32 v12, v9, 12, v3
	s_wait_alu 0xfffd
	v_cndmask_b32_e64 v10, 0, 1, vcc_lo
	v_cmp_ne_u32_e32 vcc_lo, v5, v13
	v_lshl_or_b32 v13, v11, 12, v7
	s_delay_alu instid0(VALU_DEP_3) | instskip(SKIP_3) | instid1(VALU_DEP_2)
	v_or_b32_e32 v10, v14, v10
	s_wait_alu 0xfffd
	v_cndmask_b32_e64 v5, 0, 1, vcc_lo
	v_cmp_gt_i32_e32 vcc_lo, 1, v9
	v_or_b32_e32 v5, v15, v5
	s_wait_alu 0xfffd
	v_cndmask_b32_e32 v10, v12, v10, vcc_lo
	v_cmp_gt_i32_e32 vcc_lo, 1, v11
	s_wait_alu 0xfffd
	s_delay_alu instid0(VALU_DEP_2) | instskip(SKIP_2) | instid1(VALU_DEP_3)
	v_dual_cndmask_b32 v5, v13, v5 :: v_dual_and_b32 v12, 7, v10
	v_cmp_ne_u32_e32 vcc_lo, 0, v3
	v_lshrrev_b32_e32 v10, 2, v10
	v_cmp_eq_u32_e64 s0, 3, v12
	s_delay_alu instid0(VALU_DEP_4)
	v_and_b32_e32 v13, 7, v5
	s_wait_alu 0xfffd
	v_cndmask_b32_e64 v3, 0, 1, vcc_lo
	v_cmp_ne_u32_e32 vcc_lo, 0, v7
	v_lshrrev_b32_e32 v5, 2, v5
	v_cmp_lt_i32_e64 s1, 5, v13
	v_cmp_eq_u32_e64 s2, 3, v13
	s_wait_alu 0xfffd
	v_cndmask_b32_e64 v7, 0, 1, vcc_lo
	v_cmp_lt_i32_e32 vcc_lo, 5, v12
	v_lshl_or_b32 v3, v3, 9, 0x7c00
	s_delay_alu instid0(VALU_DEP_3)
	v_lshl_or_b32 v7, v7, 9, 0x7c00
	s_or_b32 vcc_lo, s0, vcc_lo
	s_wait_alu 0xfffe
	v_add_co_ci_u32_e32 v10, vcc_lo, 0, v10, vcc_lo
	s_or_b32 vcc_lo, s2, s1
	s_wait_alu 0xfffe
	v_add_co_ci_u32_e32 v5, vcc_lo, 0, v5, vcc_lo
	v_cmp_gt_i32_e32 vcc_lo, 31, v9
	s_wait_alu 0xfffd
	v_cndmask_b32_e32 v10, 0x7c00, v10, vcc_lo
	v_cmp_gt_i32_e32 vcc_lo, 31, v11
	s_wait_alu 0xfffd
	v_cndmask_b32_e32 v5, 0x7c00, v5, vcc_lo
	v_cmp_eq_u32_e32 vcc_lo, 0x40f, v9
	s_wait_alu 0xfffd
	v_cndmask_b32_e32 v3, v10, v3, vcc_lo
	v_cmp_eq_u32_e32 vcc_lo, 0x40f, v11
	s_delay_alu instid0(VALU_DEP_2)
	v_and_or_b32 v3, 0x8000, v6, v3
	s_wait_alu 0xfffd
	v_cndmask_b32_e32 v5, v5, v7, vcc_lo
	v_add_co_u32 v0, vcc_lo, v0, s6
	s_wait_alu 0xfffd
	v_add_co_ci_u32_e32 v1, vcc_lo, s7, v1, vcc_lo
	s_delay_alu instid0(VALU_DEP_3) | instskip(SKIP_1) | instid1(VALU_DEP_1)
	v_and_or_b32 v5, 0x8000, v8, v5
	v_and_b32_e32 v3, 0xffff, v3
	v_lshl_or_b32 v3, v5, 16, v3
	v_lshrrev_b32_e32 v5, 16, v4
	global_store_b32 v[0:1], v3, off
	global_load_b32 v3, v[27:28], off offset:4320
	s_wait_loadcnt 0x0
	v_lshrrev_b32_e32 v6, 16, v3
	s_delay_alu instid0(VALU_DEP_1) | instskip(SKIP_1) | instid1(VALU_DEP_2)
	v_mul_f16_e32 v7, v5, v6
	v_mul_f16_e32 v6, v4, v6
	v_fmac_f16_e32 v7, v4, v3
	s_delay_alu instid0(VALU_DEP_2) | instskip(NEXT) | instid1(VALU_DEP_2)
	v_fma_f16 v3, v3, v5, -v6
	v_cvt_f32_f16_e32 v4, v7
	s_delay_alu instid0(VALU_DEP_2) | instskip(NEXT) | instid1(VALU_DEP_2)
	v_cvt_f32_f16_e32 v5, v3
	v_cvt_f64_f32_e32 v[3:4], v4
	s_delay_alu instid0(VALU_DEP_2) | instskip(NEXT) | instid1(VALU_DEP_2)
	v_cvt_f64_f32_e32 v[5:6], v5
	v_mul_f64_e32 v[3:4], s[8:9], v[3:4]
	s_delay_alu instid0(VALU_DEP_2) | instskip(NEXT) | instid1(VALU_DEP_2)
	v_mul_f64_e32 v[5:6], s[8:9], v[5:6]
	v_and_or_b32 v3, 0x1ff, v4, v3
	s_delay_alu instid0(VALU_DEP_2)
	v_and_or_b32 v5, 0x1ff, v6, v5
	v_lshrrev_b32_e32 v7, 8, v4
	v_bfe_u32 v8, v4, 20, 11
	v_lshrrev_b32_e32 v9, 8, v6
	v_cmp_ne_u32_e32 vcc_lo, 0, v3
	v_bfe_u32 v10, v6, 20, 11
	v_lshrrev_b32_e32 v4, 16, v4
	v_sub_nc_u32_e32 v11, 0x3f1, v8
	v_add_nc_u32_e32 v8, 0xfffffc10, v8
	s_wait_alu 0xfffd
	v_cndmask_b32_e64 v3, 0, 1, vcc_lo
	v_cmp_ne_u32_e32 vcc_lo, 0, v5
	v_lshrrev_b32_e32 v6, 16, v6
	s_delay_alu instid0(VALU_DEP_3) | instskip(SKIP_4) | instid1(VALU_DEP_3)
	v_and_or_b32 v3, 0xffe, v7, v3
	s_wait_alu 0xfffd
	v_cndmask_b32_e64 v5, 0, 1, vcc_lo
	v_sub_nc_u32_e32 v7, 0x3f1, v10
	v_add_nc_u32_e32 v10, 0xfffffc10, v10
	v_and_or_b32 v5, 0xffe, v9, v5
	v_med3_i32 v9, v11, 0, 13
	v_or_b32_e32 v11, 0x1000, v3
	v_med3_i32 v7, v7, 0, 13
	s_delay_alu instid0(VALU_DEP_4) | instskip(NEXT) | instid1(VALU_DEP_3)
	v_or_b32_e32 v12, 0x1000, v5
	v_lshrrev_b32_e32 v13, v9, v11
	s_delay_alu instid0(VALU_DEP_2) | instskip(NEXT) | instid1(VALU_DEP_2)
	v_lshrrev_b32_e32 v14, v7, v12
	v_lshlrev_b32_e32 v9, v9, v13
	s_delay_alu instid0(VALU_DEP_2) | instskip(NEXT) | instid1(VALU_DEP_2)
	v_lshlrev_b32_e32 v7, v7, v14
	v_cmp_ne_u32_e32 vcc_lo, v9, v11
	v_lshl_or_b32 v11, v8, 12, v3
	s_wait_alu 0xfffd
	v_cndmask_b32_e64 v9, 0, 1, vcc_lo
	v_cmp_ne_u32_e32 vcc_lo, v7, v12
	v_lshl_or_b32 v12, v10, 12, v5
	s_delay_alu instid0(VALU_DEP_3) | instskip(SKIP_3) | instid1(VALU_DEP_2)
	v_or_b32_e32 v9, v13, v9
	s_wait_alu 0xfffd
	v_cndmask_b32_e64 v7, 0, 1, vcc_lo
	v_cmp_gt_i32_e32 vcc_lo, 1, v8
	v_or_b32_e32 v7, v14, v7
	s_wait_alu 0xfffd
	v_cndmask_b32_e32 v9, v11, v9, vcc_lo
	v_cmp_gt_i32_e32 vcc_lo, 1, v10
	s_delay_alu instid0(VALU_DEP_2)
	v_and_b32_e32 v11, 7, v9
	s_wait_alu 0xfffd
	v_cndmask_b32_e32 v7, v12, v7, vcc_lo
	v_cmp_ne_u32_e32 vcc_lo, 0, v3
	v_lshrrev_b32_e32 v9, 2, v9
	v_cmp_eq_u32_e64 s0, 3, v11
	s_delay_alu instid0(VALU_DEP_4)
	v_and_b32_e32 v12, 7, v7
	s_wait_alu 0xfffd
	v_cndmask_b32_e64 v3, 0, 1, vcc_lo
	v_cmp_ne_u32_e32 vcc_lo, 0, v5
	v_lshrrev_b32_e32 v7, 2, v7
	v_cmp_lt_i32_e64 s1, 5, v12
	v_cmp_eq_u32_e64 s2, 3, v12
	s_wait_alu 0xfffd
	v_cndmask_b32_e64 v5, 0, 1, vcc_lo
	v_cmp_lt_i32_e32 vcc_lo, 5, v11
	v_lshl_or_b32 v3, v3, 9, 0x7c00
	s_delay_alu instid0(VALU_DEP_3)
	v_lshl_or_b32 v5, v5, 9, 0x7c00
	s_or_b32 vcc_lo, s0, vcc_lo
	s_wait_alu 0xfffe
	v_add_co_ci_u32_e32 v9, vcc_lo, 0, v9, vcc_lo
	s_or_b32 vcc_lo, s2, s1
	s_wait_alu 0xfffe
	v_add_co_ci_u32_e32 v7, vcc_lo, 0, v7, vcc_lo
	v_cmp_gt_i32_e32 vcc_lo, 31, v8
	s_wait_alu 0xfffd
	v_cndmask_b32_e32 v9, 0x7c00, v9, vcc_lo
	v_cmp_gt_i32_e32 vcc_lo, 31, v10
	s_wait_alu 0xfffd
	v_cndmask_b32_e32 v7, 0x7c00, v7, vcc_lo
	v_cmp_eq_u32_e32 vcc_lo, 0x40f, v8
	s_wait_alu 0xfffd
	v_cndmask_b32_e32 v3, v9, v3, vcc_lo
	v_cmp_eq_u32_e32 vcc_lo, 0x40f, v10
	s_delay_alu instid0(VALU_DEP_2)
	v_and_or_b32 v3, 0x8000, v4, v3
	s_wait_alu 0xfffd
	v_cndmask_b32_e32 v5, v7, v5, vcc_lo
	v_add_co_u32 v0, vcc_lo, v0, s6
	s_wait_alu 0xfffd
	v_add_co_ci_u32_e32 v1, vcc_lo, s7, v1, vcc_lo
	s_delay_alu instid0(VALU_DEP_3) | instskip(SKIP_1) | instid1(VALU_DEP_1)
	v_and_or_b32 v4, 0x8000, v6, v5
	v_and_b32_e32 v3, 0xffff, v3
	v_lshl_or_b32 v3, v4, 16, v3
	global_store_b32 v[0:1], v3, off
	global_load_b32 v5, v[27:28], off offset:5088
	ds_load_2addr_stride64_b32 v[3:4], v2 offset0:19 offset1:22
	s_wait_dscnt 0x0
	v_lshrrev_b32_e32 v6, 16, v3
	s_wait_loadcnt 0x0
	v_lshrrev_b32_e32 v7, 16, v5
	s_delay_alu instid0(VALU_DEP_1) | instskip(SKIP_1) | instid1(VALU_DEP_2)
	v_mul_f16_e32 v8, v6, v7
	v_mul_f16_e32 v7, v3, v7
	v_fmac_f16_e32 v8, v3, v5
	s_delay_alu instid0(VALU_DEP_2) | instskip(NEXT) | instid1(VALU_DEP_2)
	v_fma_f16 v3, v5, v6, -v7
	v_cvt_f32_f16_e32 v5, v8
	s_delay_alu instid0(VALU_DEP_2) | instskip(NEXT) | instid1(VALU_DEP_2)
	v_cvt_f32_f16_e32 v3, v3
	v_cvt_f64_f32_e32 v[5:6], v5
	s_delay_alu instid0(VALU_DEP_2) | instskip(NEXT) | instid1(VALU_DEP_2)
	v_cvt_f64_f32_e32 v[7:8], v3
	v_mul_f64_e32 v[5:6], s[8:9], v[5:6]
	s_delay_alu instid0(VALU_DEP_2) | instskip(NEXT) | instid1(VALU_DEP_2)
	v_mul_f64_e32 v[7:8], s[8:9], v[7:8]
	v_and_or_b32 v3, 0x1ff, v6, v5
	s_delay_alu instid0(VALU_DEP_2)
	v_and_or_b32 v7, 0x1ff, v8, v7
	v_lshrrev_b32_e32 v5, 8, v6
	v_bfe_u32 v9, v6, 20, 11
	v_lshrrev_b32_e32 v10, 8, v8
	v_cmp_ne_u32_e32 vcc_lo, 0, v3
	v_bfe_u32 v11, v8, 20, 11
	v_lshrrev_b32_e32 v6, 16, v6
	v_sub_nc_u32_e32 v12, 0x3f1, v9
	v_add_nc_u32_e32 v9, 0xfffffc10, v9
	s_wait_alu 0xfffd
	v_cndmask_b32_e64 v3, 0, 1, vcc_lo
	v_cmp_ne_u32_e32 vcc_lo, 0, v7
	v_lshrrev_b32_e32 v8, 16, v8
	s_delay_alu instid0(VALU_DEP_3) | instskip(SKIP_4) | instid1(VALU_DEP_3)
	v_and_or_b32 v3, 0xffe, v5, v3
	s_wait_alu 0xfffd
	v_cndmask_b32_e64 v7, 0, 1, vcc_lo
	v_sub_nc_u32_e32 v5, 0x3f1, v11
	v_add_nc_u32_e32 v11, 0xfffffc10, v11
	v_and_or_b32 v7, 0xffe, v10, v7
	v_med3_i32 v10, v12, 0, 13
	v_or_b32_e32 v12, 0x1000, v3
	v_med3_i32 v5, v5, 0, 13
	s_delay_alu instid0(VALU_DEP_4) | instskip(NEXT) | instid1(VALU_DEP_3)
	v_or_b32_e32 v13, 0x1000, v7
	v_lshrrev_b32_e32 v14, v10, v12
	s_delay_alu instid0(VALU_DEP_2) | instskip(NEXT) | instid1(VALU_DEP_2)
	v_lshrrev_b32_e32 v15, v5, v13
	v_lshlrev_b32_e32 v10, v10, v14
	s_delay_alu instid0(VALU_DEP_2) | instskip(NEXT) | instid1(VALU_DEP_2)
	v_lshlrev_b32_e32 v5, v5, v15
	v_cmp_ne_u32_e32 vcc_lo, v10, v12
	v_lshl_or_b32 v12, v9, 12, v3
	s_wait_alu 0xfffd
	v_cndmask_b32_e64 v10, 0, 1, vcc_lo
	v_cmp_ne_u32_e32 vcc_lo, v5, v13
	v_lshl_or_b32 v13, v11, 12, v7
	s_delay_alu instid0(VALU_DEP_3) | instskip(SKIP_3) | instid1(VALU_DEP_2)
	v_or_b32_e32 v10, v14, v10
	s_wait_alu 0xfffd
	v_cndmask_b32_e64 v5, 0, 1, vcc_lo
	v_cmp_gt_i32_e32 vcc_lo, 1, v9
	v_or_b32_e32 v5, v15, v5
	s_wait_alu 0xfffd
	v_cndmask_b32_e32 v10, v12, v10, vcc_lo
	v_cmp_gt_i32_e32 vcc_lo, 1, v11
	s_wait_alu 0xfffd
	s_delay_alu instid0(VALU_DEP_2) | instskip(SKIP_2) | instid1(VALU_DEP_3)
	v_dual_cndmask_b32 v5, v13, v5 :: v_dual_and_b32 v12, 7, v10
	v_cmp_ne_u32_e32 vcc_lo, 0, v3
	v_lshrrev_b32_e32 v10, 2, v10
	v_cmp_eq_u32_e64 s0, 3, v12
	s_delay_alu instid0(VALU_DEP_4)
	v_and_b32_e32 v13, 7, v5
	s_wait_alu 0xfffd
	v_cndmask_b32_e64 v3, 0, 1, vcc_lo
	v_cmp_ne_u32_e32 vcc_lo, 0, v7
	v_lshrrev_b32_e32 v5, 2, v5
	v_cmp_lt_i32_e64 s1, 5, v13
	v_cmp_eq_u32_e64 s2, 3, v13
	s_wait_alu 0xfffd
	v_cndmask_b32_e64 v7, 0, 1, vcc_lo
	v_cmp_lt_i32_e32 vcc_lo, 5, v12
	v_lshl_or_b32 v3, v3, 9, 0x7c00
	s_delay_alu instid0(VALU_DEP_3)
	v_lshl_or_b32 v7, v7, 9, 0x7c00
	s_or_b32 vcc_lo, s0, vcc_lo
	s_wait_alu 0xfffe
	v_add_co_ci_u32_e32 v10, vcc_lo, 0, v10, vcc_lo
	s_or_b32 vcc_lo, s2, s1
	s_wait_alu 0xfffe
	v_add_co_ci_u32_e32 v5, vcc_lo, 0, v5, vcc_lo
	v_cmp_gt_i32_e32 vcc_lo, 31, v9
	s_wait_alu 0xfffd
	v_cndmask_b32_e32 v10, 0x7c00, v10, vcc_lo
	v_cmp_gt_i32_e32 vcc_lo, 31, v11
	s_wait_alu 0xfffd
	v_cndmask_b32_e32 v5, 0x7c00, v5, vcc_lo
	v_cmp_eq_u32_e32 vcc_lo, 0x40f, v9
	s_wait_alu 0xfffd
	v_cndmask_b32_e32 v3, v10, v3, vcc_lo
	v_cmp_eq_u32_e32 vcc_lo, 0x40f, v11
	s_delay_alu instid0(VALU_DEP_2)
	v_and_or_b32 v3, 0x8000, v6, v3
	s_wait_alu 0xfffd
	v_cndmask_b32_e32 v5, v5, v7, vcc_lo
	v_add_co_u32 v0, vcc_lo, v0, s6
	s_wait_alu 0xfffd
	v_add_co_ci_u32_e32 v1, vcc_lo, s7, v1, vcc_lo
	s_delay_alu instid0(VALU_DEP_3) | instskip(SKIP_1) | instid1(VALU_DEP_1)
	v_and_or_b32 v5, 0x8000, v8, v5
	v_and_b32_e32 v3, 0xffff, v3
	v_lshl_or_b32 v3, v5, 16, v3
	v_lshrrev_b32_e32 v5, 16, v4
	global_store_b32 v[0:1], v3, off
	global_load_b32 v3, v[27:28], off offset:5856
	s_wait_loadcnt 0x0
	v_lshrrev_b32_e32 v6, 16, v3
	s_delay_alu instid0(VALU_DEP_1) | instskip(SKIP_1) | instid1(VALU_DEP_2)
	v_mul_f16_e32 v7, v5, v6
	v_mul_f16_e32 v6, v4, v6
	v_fmac_f16_e32 v7, v4, v3
	s_delay_alu instid0(VALU_DEP_2) | instskip(NEXT) | instid1(VALU_DEP_2)
	v_fma_f16 v3, v3, v5, -v6
	v_cvt_f32_f16_e32 v4, v7
	s_delay_alu instid0(VALU_DEP_2) | instskip(NEXT) | instid1(VALU_DEP_2)
	v_cvt_f32_f16_e32 v5, v3
	v_cvt_f64_f32_e32 v[3:4], v4
	s_delay_alu instid0(VALU_DEP_2) | instskip(NEXT) | instid1(VALU_DEP_2)
	v_cvt_f64_f32_e32 v[5:6], v5
	v_mul_f64_e32 v[3:4], s[8:9], v[3:4]
	s_delay_alu instid0(VALU_DEP_2) | instskip(NEXT) | instid1(VALU_DEP_2)
	v_mul_f64_e32 v[5:6], s[8:9], v[5:6]
	v_and_or_b32 v3, 0x1ff, v4, v3
	s_delay_alu instid0(VALU_DEP_2)
	v_and_or_b32 v5, 0x1ff, v6, v5
	v_lshrrev_b32_e32 v7, 8, v4
	v_bfe_u32 v8, v4, 20, 11
	v_lshrrev_b32_e32 v9, 8, v6
	v_cmp_ne_u32_e32 vcc_lo, 0, v3
	v_bfe_u32 v10, v6, 20, 11
	v_lshrrev_b32_e32 v4, 16, v4
	v_sub_nc_u32_e32 v11, 0x3f1, v8
	v_add_nc_u32_e32 v8, 0xfffffc10, v8
	s_wait_alu 0xfffd
	v_cndmask_b32_e64 v3, 0, 1, vcc_lo
	v_cmp_ne_u32_e32 vcc_lo, 0, v5
	v_lshrrev_b32_e32 v6, 16, v6
	s_delay_alu instid0(VALU_DEP_3) | instskip(SKIP_4) | instid1(VALU_DEP_3)
	v_and_or_b32 v3, 0xffe, v7, v3
	s_wait_alu 0xfffd
	v_cndmask_b32_e64 v5, 0, 1, vcc_lo
	v_sub_nc_u32_e32 v7, 0x3f1, v10
	v_add_nc_u32_e32 v10, 0xfffffc10, v10
	v_and_or_b32 v5, 0xffe, v9, v5
	v_med3_i32 v9, v11, 0, 13
	v_or_b32_e32 v11, 0x1000, v3
	v_med3_i32 v7, v7, 0, 13
	s_delay_alu instid0(VALU_DEP_4) | instskip(NEXT) | instid1(VALU_DEP_3)
	v_or_b32_e32 v12, 0x1000, v5
	v_lshrrev_b32_e32 v13, v9, v11
	s_delay_alu instid0(VALU_DEP_2) | instskip(NEXT) | instid1(VALU_DEP_2)
	v_lshrrev_b32_e32 v14, v7, v12
	v_lshlrev_b32_e32 v9, v9, v13
	s_delay_alu instid0(VALU_DEP_2) | instskip(NEXT) | instid1(VALU_DEP_2)
	v_lshlrev_b32_e32 v7, v7, v14
	v_cmp_ne_u32_e32 vcc_lo, v9, v11
	v_lshl_or_b32 v11, v8, 12, v3
	s_wait_alu 0xfffd
	v_cndmask_b32_e64 v9, 0, 1, vcc_lo
	v_cmp_ne_u32_e32 vcc_lo, v7, v12
	v_lshl_or_b32 v12, v10, 12, v5
	s_delay_alu instid0(VALU_DEP_3) | instskip(SKIP_3) | instid1(VALU_DEP_2)
	v_or_b32_e32 v9, v13, v9
	s_wait_alu 0xfffd
	v_cndmask_b32_e64 v7, 0, 1, vcc_lo
	v_cmp_gt_i32_e32 vcc_lo, 1, v8
	v_or_b32_e32 v7, v14, v7
	s_wait_alu 0xfffd
	v_cndmask_b32_e32 v9, v11, v9, vcc_lo
	v_cmp_gt_i32_e32 vcc_lo, 1, v10
	s_delay_alu instid0(VALU_DEP_2)
	v_and_b32_e32 v11, 7, v9
	s_wait_alu 0xfffd
	v_cndmask_b32_e32 v7, v12, v7, vcc_lo
	v_cmp_ne_u32_e32 vcc_lo, 0, v3
	v_lshrrev_b32_e32 v9, 2, v9
	v_cmp_eq_u32_e64 s0, 3, v11
	s_delay_alu instid0(VALU_DEP_4)
	v_and_b32_e32 v12, 7, v7
	s_wait_alu 0xfffd
	v_cndmask_b32_e64 v3, 0, 1, vcc_lo
	v_cmp_ne_u32_e32 vcc_lo, 0, v5
	v_lshrrev_b32_e32 v7, 2, v7
	v_cmp_lt_i32_e64 s1, 5, v12
	v_cmp_eq_u32_e64 s2, 3, v12
	s_wait_alu 0xfffd
	v_cndmask_b32_e64 v5, 0, 1, vcc_lo
	v_cmp_lt_i32_e32 vcc_lo, 5, v11
	v_lshl_or_b32 v3, v3, 9, 0x7c00
	s_delay_alu instid0(VALU_DEP_3)
	v_lshl_or_b32 v5, v5, 9, 0x7c00
	s_or_b32 vcc_lo, s0, vcc_lo
	s_wait_alu 0xfffe
	v_add_co_ci_u32_e32 v9, vcc_lo, 0, v9, vcc_lo
	s_or_b32 vcc_lo, s2, s1
	s_wait_alu 0xfffe
	v_add_co_ci_u32_e32 v7, vcc_lo, 0, v7, vcc_lo
	v_cmp_gt_i32_e32 vcc_lo, 31, v8
	s_wait_alu 0xfffd
	v_cndmask_b32_e32 v9, 0x7c00, v9, vcc_lo
	v_cmp_gt_i32_e32 vcc_lo, 31, v10
	s_wait_alu 0xfffd
	v_cndmask_b32_e32 v7, 0x7c00, v7, vcc_lo
	v_cmp_eq_u32_e32 vcc_lo, 0x40f, v8
	s_wait_alu 0xfffd
	v_cndmask_b32_e32 v3, v9, v3, vcc_lo
	v_cmp_eq_u32_e32 vcc_lo, 0x40f, v10
	s_delay_alu instid0(VALU_DEP_2)
	v_and_or_b32 v3, 0x8000, v4, v3
	s_wait_alu 0xfffd
	v_cndmask_b32_e32 v5, v7, v5, vcc_lo
	v_add_co_u32 v0, vcc_lo, v0, s6
	s_wait_alu 0xfffd
	v_add_co_ci_u32_e32 v1, vcc_lo, s7, v1, vcc_lo
	s_delay_alu instid0(VALU_DEP_3) | instskip(SKIP_1) | instid1(VALU_DEP_1)
	v_and_or_b32 v4, 0x8000, v6, v5
	v_and_b32_e32 v3, 0xffff, v3
	v_lshl_or_b32 v3, v4, 16, v3
	global_store_b32 v[0:1], v3, off
	global_load_b32 v4, v[27:28], off offset:6624
	ds_load_2addr_stride64_b32 v[2:3], v2 offset0:25 offset1:28
	s_wait_dscnt 0x0
	v_lshrrev_b32_e32 v5, 16, v2
	s_wait_loadcnt 0x0
	v_lshrrev_b32_e32 v6, 16, v4
	s_delay_alu instid0(VALU_DEP_1) | instskip(SKIP_1) | instid1(VALU_DEP_2)
	v_mul_f16_e32 v7, v5, v6
	v_mul_f16_e32 v6, v2, v6
	v_fmac_f16_e32 v7, v2, v4
	s_delay_alu instid0(VALU_DEP_2) | instskip(NEXT) | instid1(VALU_DEP_2)
	v_fma_f16 v2, v4, v5, -v6
	v_cvt_f32_f16_e32 v4, v7
	s_delay_alu instid0(VALU_DEP_2) | instskip(NEXT) | instid1(VALU_DEP_2)
	v_cvt_f32_f16_e32 v2, v2
	v_cvt_f64_f32_e32 v[4:5], v4
	s_delay_alu instid0(VALU_DEP_2) | instskip(NEXT) | instid1(VALU_DEP_2)
	v_cvt_f64_f32_e32 v[6:7], v2
	v_mul_f64_e32 v[4:5], s[8:9], v[4:5]
	s_delay_alu instid0(VALU_DEP_2) | instskip(NEXT) | instid1(VALU_DEP_2)
	v_mul_f64_e32 v[6:7], s[8:9], v[6:7]
	v_and_or_b32 v2, 0x1ff, v5, v4
	s_delay_alu instid0(VALU_DEP_2)
	v_and_or_b32 v6, 0x1ff, v7, v6
	v_lshrrev_b32_e32 v4, 8, v5
	v_bfe_u32 v8, v5, 20, 11
	v_lshrrev_b32_e32 v9, 8, v7
	v_cmp_ne_u32_e32 vcc_lo, 0, v2
	v_bfe_u32 v10, v7, 20, 11
	v_lshrrev_b32_e32 v5, 16, v5
	v_sub_nc_u32_e32 v11, 0x3f1, v8
	v_add_nc_u32_e32 v8, 0xfffffc10, v8
	s_wait_alu 0xfffd
	v_cndmask_b32_e64 v2, 0, 1, vcc_lo
	v_cmp_ne_u32_e32 vcc_lo, 0, v6
	v_lshrrev_b32_e32 v7, 16, v7
	s_delay_alu instid0(VALU_DEP_3) | instskip(SKIP_4) | instid1(VALU_DEP_3)
	v_and_or_b32 v2, 0xffe, v4, v2
	s_wait_alu 0xfffd
	v_cndmask_b32_e64 v6, 0, 1, vcc_lo
	v_sub_nc_u32_e32 v4, 0x3f1, v10
	v_add_nc_u32_e32 v10, 0xfffffc10, v10
	v_and_or_b32 v6, 0xffe, v9, v6
	v_med3_i32 v9, v11, 0, 13
	v_or_b32_e32 v11, 0x1000, v2
	v_med3_i32 v4, v4, 0, 13
	s_delay_alu instid0(VALU_DEP_4) | instskip(NEXT) | instid1(VALU_DEP_3)
	v_or_b32_e32 v12, 0x1000, v6
	v_lshrrev_b32_e32 v13, v9, v11
	s_delay_alu instid0(VALU_DEP_2) | instskip(NEXT) | instid1(VALU_DEP_2)
	v_lshrrev_b32_e32 v14, v4, v12
	v_lshlrev_b32_e32 v9, v9, v13
	s_delay_alu instid0(VALU_DEP_2) | instskip(NEXT) | instid1(VALU_DEP_2)
	v_lshlrev_b32_e32 v4, v4, v14
	v_cmp_ne_u32_e32 vcc_lo, v9, v11
	v_lshl_or_b32 v11, v8, 12, v2
	s_wait_alu 0xfffd
	v_cndmask_b32_e64 v9, 0, 1, vcc_lo
	v_cmp_ne_u32_e32 vcc_lo, v4, v12
	v_lshl_or_b32 v12, v10, 12, v6
	s_delay_alu instid0(VALU_DEP_3) | instskip(SKIP_3) | instid1(VALU_DEP_2)
	v_or_b32_e32 v9, v13, v9
	s_wait_alu 0xfffd
	v_cndmask_b32_e64 v4, 0, 1, vcc_lo
	v_cmp_gt_i32_e32 vcc_lo, 1, v8
	v_or_b32_e32 v4, v14, v4
	s_wait_alu 0xfffd
	v_cndmask_b32_e32 v9, v11, v9, vcc_lo
	v_cmp_gt_i32_e32 vcc_lo, 1, v10
	s_wait_alu 0xfffd
	s_delay_alu instid0(VALU_DEP_2) | instskip(SKIP_2) | instid1(VALU_DEP_3)
	v_dual_cndmask_b32 v4, v12, v4 :: v_dual_and_b32 v11, 7, v9
	v_cmp_ne_u32_e32 vcc_lo, 0, v2
	v_lshrrev_b32_e32 v9, 2, v9
	v_cmp_eq_u32_e64 s0, 3, v11
	s_delay_alu instid0(VALU_DEP_4)
	v_and_b32_e32 v12, 7, v4
	s_wait_alu 0xfffd
	v_cndmask_b32_e64 v2, 0, 1, vcc_lo
	v_cmp_ne_u32_e32 vcc_lo, 0, v6
	v_lshrrev_b32_e32 v4, 2, v4
	v_cmp_lt_i32_e64 s1, 5, v12
	v_cmp_eq_u32_e64 s2, 3, v12
	s_wait_alu 0xfffd
	v_cndmask_b32_e64 v6, 0, 1, vcc_lo
	v_cmp_lt_i32_e32 vcc_lo, 5, v11
	v_lshl_or_b32 v2, v2, 9, 0x7c00
	s_delay_alu instid0(VALU_DEP_3)
	v_lshl_or_b32 v6, v6, 9, 0x7c00
	s_or_b32 vcc_lo, s0, vcc_lo
	s_wait_alu 0xfffe
	v_add_co_ci_u32_e32 v9, vcc_lo, 0, v9, vcc_lo
	s_or_b32 vcc_lo, s2, s1
	s_wait_alu 0xfffe
	v_add_co_ci_u32_e32 v4, vcc_lo, 0, v4, vcc_lo
	v_cmp_gt_i32_e32 vcc_lo, 31, v8
	s_wait_alu 0xfffd
	v_cndmask_b32_e32 v9, 0x7c00, v9, vcc_lo
	v_cmp_gt_i32_e32 vcc_lo, 31, v10
	s_wait_alu 0xfffd
	v_cndmask_b32_e32 v4, 0x7c00, v4, vcc_lo
	v_cmp_eq_u32_e32 vcc_lo, 0x40f, v8
	s_wait_alu 0xfffd
	v_cndmask_b32_e32 v2, v9, v2, vcc_lo
	v_cmp_eq_u32_e32 vcc_lo, 0x40f, v10
	s_delay_alu instid0(VALU_DEP_2)
	v_and_or_b32 v2, 0x8000, v5, v2
	s_wait_alu 0xfffd
	v_cndmask_b32_e32 v4, v4, v6, vcc_lo
	v_add_co_u32 v0, vcc_lo, v0, s6
	s_wait_alu 0xfffd
	v_add_co_ci_u32_e32 v1, vcc_lo, s7, v1, vcc_lo
	s_delay_alu instid0(VALU_DEP_3) | instskip(SKIP_1) | instid1(VALU_DEP_1)
	v_and_or_b32 v4, 0x8000, v7, v4
	v_and_b32_e32 v2, 0xffff, v2
	v_lshl_or_b32 v2, v4, 16, v2
	v_lshrrev_b32_e32 v4, 16, v3
	global_store_b32 v[0:1], v2, off
	global_load_b32 v2, v[27:28], off offset:7392
	s_wait_loadcnt 0x0
	v_lshrrev_b32_e32 v5, 16, v2
	s_delay_alu instid0(VALU_DEP_1) | instskip(SKIP_1) | instid1(VALU_DEP_2)
	v_mul_f16_e32 v6, v4, v5
	v_mul_f16_e32 v5, v3, v5
	v_fmac_f16_e32 v6, v3, v2
	s_delay_alu instid0(VALU_DEP_2) | instskip(NEXT) | instid1(VALU_DEP_2)
	v_fma_f16 v2, v2, v4, -v5
	v_cvt_f32_f16_e32 v3, v6
	s_delay_alu instid0(VALU_DEP_2) | instskip(NEXT) | instid1(VALU_DEP_2)
	v_cvt_f32_f16_e32 v4, v2
	v_cvt_f64_f32_e32 v[2:3], v3
	s_delay_alu instid0(VALU_DEP_2) | instskip(NEXT) | instid1(VALU_DEP_2)
	v_cvt_f64_f32_e32 v[4:5], v4
	v_mul_f64_e32 v[2:3], s[8:9], v[2:3]
	s_delay_alu instid0(VALU_DEP_2) | instskip(NEXT) | instid1(VALU_DEP_2)
	v_mul_f64_e32 v[4:5], s[8:9], v[4:5]
	v_and_or_b32 v2, 0x1ff, v3, v2
	s_delay_alu instid0(VALU_DEP_2)
	v_and_or_b32 v4, 0x1ff, v5, v4
	v_lshrrev_b32_e32 v6, 8, v3
	v_bfe_u32 v7, v3, 20, 11
	v_lshrrev_b32_e32 v8, 8, v5
	v_cmp_ne_u32_e32 vcc_lo, 0, v2
	v_bfe_u32 v9, v5, 20, 11
	v_lshrrev_b32_e32 v3, 16, v3
	v_sub_nc_u32_e32 v10, 0x3f1, v7
	v_add_nc_u32_e32 v7, 0xfffffc10, v7
	s_wait_alu 0xfffd
	v_cndmask_b32_e64 v2, 0, 1, vcc_lo
	v_cmp_ne_u32_e32 vcc_lo, 0, v4
	v_lshrrev_b32_e32 v5, 16, v5
	s_delay_alu instid0(VALU_DEP_3) | instskip(SKIP_4) | instid1(VALU_DEP_3)
	v_and_or_b32 v2, 0xffe, v6, v2
	s_wait_alu 0xfffd
	v_cndmask_b32_e64 v4, 0, 1, vcc_lo
	v_sub_nc_u32_e32 v6, 0x3f1, v9
	v_add_nc_u32_e32 v9, 0xfffffc10, v9
	v_and_or_b32 v4, 0xffe, v8, v4
	v_med3_i32 v8, v10, 0, 13
	v_or_b32_e32 v10, 0x1000, v2
	v_med3_i32 v6, v6, 0, 13
	s_delay_alu instid0(VALU_DEP_4) | instskip(NEXT) | instid1(VALU_DEP_3)
	v_or_b32_e32 v11, 0x1000, v4
	v_lshrrev_b32_e32 v12, v8, v10
	s_delay_alu instid0(VALU_DEP_2) | instskip(NEXT) | instid1(VALU_DEP_2)
	v_lshrrev_b32_e32 v13, v6, v11
	v_lshlrev_b32_e32 v8, v8, v12
	s_delay_alu instid0(VALU_DEP_2) | instskip(NEXT) | instid1(VALU_DEP_2)
	v_lshlrev_b32_e32 v6, v6, v13
	v_cmp_ne_u32_e32 vcc_lo, v8, v10
	v_lshl_or_b32 v10, v7, 12, v2
	s_wait_alu 0xfffd
	v_cndmask_b32_e64 v8, 0, 1, vcc_lo
	v_cmp_ne_u32_e32 vcc_lo, v6, v11
	v_lshl_or_b32 v11, v9, 12, v4
	s_delay_alu instid0(VALU_DEP_3) | instskip(SKIP_3) | instid1(VALU_DEP_2)
	v_or_b32_e32 v8, v12, v8
	s_wait_alu 0xfffd
	v_cndmask_b32_e64 v6, 0, 1, vcc_lo
	v_cmp_gt_i32_e32 vcc_lo, 1, v7
	v_or_b32_e32 v6, v13, v6
	s_wait_alu 0xfffd
	v_cndmask_b32_e32 v8, v10, v8, vcc_lo
	v_cmp_gt_i32_e32 vcc_lo, 1, v9
	s_delay_alu instid0(VALU_DEP_2)
	v_and_b32_e32 v10, 7, v8
	s_wait_alu 0xfffd
	v_cndmask_b32_e32 v6, v11, v6, vcc_lo
	v_cmp_ne_u32_e32 vcc_lo, 0, v2
	v_lshrrev_b32_e32 v8, 2, v8
	v_cmp_eq_u32_e64 s0, 3, v10
	s_delay_alu instid0(VALU_DEP_4)
	v_and_b32_e32 v11, 7, v6
	s_wait_alu 0xfffd
	v_cndmask_b32_e64 v2, 0, 1, vcc_lo
	v_cmp_ne_u32_e32 vcc_lo, 0, v4
	v_lshrrev_b32_e32 v6, 2, v6
	v_cmp_lt_i32_e64 s1, 5, v11
	v_cmp_eq_u32_e64 s2, 3, v11
	s_wait_alu 0xfffd
	v_cndmask_b32_e64 v4, 0, 1, vcc_lo
	v_cmp_lt_i32_e32 vcc_lo, 5, v10
	v_lshl_or_b32 v2, v2, 9, 0x7c00
	s_delay_alu instid0(VALU_DEP_3)
	v_lshl_or_b32 v4, v4, 9, 0x7c00
	s_or_b32 vcc_lo, s0, vcc_lo
	s_wait_alu 0xfffe
	v_add_co_ci_u32_e32 v8, vcc_lo, 0, v8, vcc_lo
	s_or_b32 vcc_lo, s2, s1
	s_wait_alu 0xfffe
	v_add_co_ci_u32_e32 v6, vcc_lo, 0, v6, vcc_lo
	v_cmp_gt_i32_e32 vcc_lo, 31, v7
	s_wait_alu 0xfffd
	v_cndmask_b32_e32 v8, 0x7c00, v8, vcc_lo
	v_cmp_gt_i32_e32 vcc_lo, 31, v9
	s_wait_alu 0xfffd
	v_cndmask_b32_e32 v6, 0x7c00, v6, vcc_lo
	v_cmp_eq_u32_e32 vcc_lo, 0x40f, v7
	s_wait_alu 0xfffd
	v_cndmask_b32_e32 v2, v8, v2, vcc_lo
	v_cmp_eq_u32_e32 vcc_lo, 0x40f, v9
	s_delay_alu instid0(VALU_DEP_2)
	v_and_or_b32 v2, 0x8000, v3, v2
	s_wait_alu 0xfffd
	v_cndmask_b32_e32 v4, v6, v4, vcc_lo
	v_add_co_u32 v0, vcc_lo, v0, s6
	s_wait_alu 0xfffd
	v_add_co_ci_u32_e32 v1, vcc_lo, s7, v1, vcc_lo
	v_and_b32_e32 v2, 0xffff, v2
	v_and_or_b32 v3, 0x8000, v5, v4
	s_delay_alu instid0(VALU_DEP_1)
	v_lshl_or_b32 v2, v3, 16, v2
	global_store_b32 v[0:1], v2, off
.LBB0_23:
	s_nop 0
	s_sendmsg sendmsg(MSG_DEALLOC_VGPRS)
	s_endpgm
	.section	.rodata,"a",@progbits
	.p2align	6, 0x0
	.amdhsa_kernel bluestein_single_fwd_len1920_dim1_half_op_CI_CI
		.amdhsa_group_segment_fixed_size 15360
		.amdhsa_private_segment_fixed_size 0
		.amdhsa_kernarg_size 104
		.amdhsa_user_sgpr_count 2
		.amdhsa_user_sgpr_dispatch_ptr 0
		.amdhsa_user_sgpr_queue_ptr 0
		.amdhsa_user_sgpr_kernarg_segment_ptr 1
		.amdhsa_user_sgpr_dispatch_id 0
		.amdhsa_user_sgpr_private_segment_size 0
		.amdhsa_wavefront_size32 1
		.amdhsa_uses_dynamic_stack 0
		.amdhsa_enable_private_segment 0
		.amdhsa_system_sgpr_workgroup_id_x 1
		.amdhsa_system_sgpr_workgroup_id_y 0
		.amdhsa_system_sgpr_workgroup_id_z 0
		.amdhsa_system_sgpr_workgroup_info 0
		.amdhsa_system_vgpr_workitem_id 0
		.amdhsa_next_free_vgpr 184
		.amdhsa_next_free_sgpr 18
		.amdhsa_reserve_vcc 1
		.amdhsa_float_round_mode_32 0
		.amdhsa_float_round_mode_16_64 0
		.amdhsa_float_denorm_mode_32 3
		.amdhsa_float_denorm_mode_16_64 3
		.amdhsa_fp16_overflow 0
		.amdhsa_workgroup_processor_mode 1
		.amdhsa_memory_ordered 1
		.amdhsa_forward_progress 0
		.amdhsa_round_robin_scheduling 0
		.amdhsa_exception_fp_ieee_invalid_op 0
		.amdhsa_exception_fp_denorm_src 0
		.amdhsa_exception_fp_ieee_div_zero 0
		.amdhsa_exception_fp_ieee_overflow 0
		.amdhsa_exception_fp_ieee_underflow 0
		.amdhsa_exception_fp_ieee_inexact 0
		.amdhsa_exception_int_div_zero 0
	.end_amdhsa_kernel
	.text
.Lfunc_end0:
	.size	bluestein_single_fwd_len1920_dim1_half_op_CI_CI, .Lfunc_end0-bluestein_single_fwd_len1920_dim1_half_op_CI_CI
                                        ; -- End function
	.section	.AMDGPU.csdata,"",@progbits
; Kernel info:
; codeLenInByte = 33488
; NumSgprs: 20
; NumVgprs: 184
; ScratchSize: 0
; MemoryBound: 0
; FloatMode: 240
; IeeeMode: 1
; LDSByteSize: 15360 bytes/workgroup (compile time only)
; SGPRBlocks: 2
; VGPRBlocks: 22
; NumSGPRsForWavesPerEU: 20
; NumVGPRsForWavesPerEU: 184
; Occupancy: 8
; WaveLimiterHint : 1
; COMPUTE_PGM_RSRC2:SCRATCH_EN: 0
; COMPUTE_PGM_RSRC2:USER_SGPR: 2
; COMPUTE_PGM_RSRC2:TRAP_HANDLER: 0
; COMPUTE_PGM_RSRC2:TGID_X_EN: 1
; COMPUTE_PGM_RSRC2:TGID_Y_EN: 0
; COMPUTE_PGM_RSRC2:TGID_Z_EN: 0
; COMPUTE_PGM_RSRC2:TIDIG_COMP_CNT: 0
	.text
	.p2alignl 7, 3214868480
	.fill 96, 4, 3214868480
	.type	__hip_cuid_7a956810ffe3c99f,@object ; @__hip_cuid_7a956810ffe3c99f
	.section	.bss,"aw",@nobits
	.globl	__hip_cuid_7a956810ffe3c99f
__hip_cuid_7a956810ffe3c99f:
	.byte	0                               ; 0x0
	.size	__hip_cuid_7a956810ffe3c99f, 1

	.ident	"AMD clang version 19.0.0git (https://github.com/RadeonOpenCompute/llvm-project roc-6.4.0 25133 c7fe45cf4b819c5991fe208aaa96edf142730f1d)"
	.section	".note.GNU-stack","",@progbits
	.addrsig
	.addrsig_sym __hip_cuid_7a956810ffe3c99f
	.amdgpu_metadata
---
amdhsa.kernels:
  - .args:
      - .actual_access:  read_only
        .address_space:  global
        .offset:         0
        .size:           8
        .value_kind:     global_buffer
      - .actual_access:  read_only
        .address_space:  global
        .offset:         8
        .size:           8
        .value_kind:     global_buffer
      - .actual_access:  read_only
        .address_space:  global
        .offset:         16
        .size:           8
        .value_kind:     global_buffer
      - .actual_access:  read_only
        .address_space:  global
        .offset:         24
        .size:           8
        .value_kind:     global_buffer
      - .actual_access:  read_only
        .address_space:  global
        .offset:         32
        .size:           8
        .value_kind:     global_buffer
      - .offset:         40
        .size:           8
        .value_kind:     by_value
      - .address_space:  global
        .offset:         48
        .size:           8
        .value_kind:     global_buffer
      - .address_space:  global
        .offset:         56
        .size:           8
        .value_kind:     global_buffer
      - .address_space:  global
        .offset:         64
        .size:           8
        .value_kind:     global_buffer
      - .address_space:  global
        .offset:         72
        .size:           8
        .value_kind:     global_buffer
      - .offset:         80
        .size:           4
        .value_kind:     by_value
      - .address_space:  global
        .offset:         88
        .size:           8
        .value_kind:     global_buffer
      - .address_space:  global
        .offset:         96
        .size:           8
        .value_kind:     global_buffer
    .group_segment_fixed_size: 15360
    .kernarg_segment_align: 8
    .kernarg_segment_size: 104
    .language:       OpenCL C
    .language_version:
      - 2
      - 0
    .max_flat_workgroup_size: 240
    .name:           bluestein_single_fwd_len1920_dim1_half_op_CI_CI
    .private_segment_fixed_size: 0
    .sgpr_count:     20
    .sgpr_spill_count: 0
    .symbol:         bluestein_single_fwd_len1920_dim1_half_op_CI_CI.kd
    .uniform_work_group_size: 1
    .uses_dynamic_stack: false
    .vgpr_count:     184
    .vgpr_spill_count: 0
    .wavefront_size: 32
    .workgroup_processor_mode: 1
amdhsa.target:   amdgcn-amd-amdhsa--gfx1201
amdhsa.version:
  - 1
  - 2
...

	.end_amdgpu_metadata
